;; amdgpu-corpus repo=ROCm/rocFFT kind=compiled arch=gfx1201 opt=O3
	.text
	.amdgcn_target "amdgcn-amd-amdhsa--gfx1201"
	.amdhsa_code_object_version 6
	.protected	fft_rtc_fwd_len2250_factors_10_3_5_3_5_wgs_90_tpt_90_halfLds_sp_ip_CI_unitstride_sbrr_R2C_dirReg ; -- Begin function fft_rtc_fwd_len2250_factors_10_3_5_3_5_wgs_90_tpt_90_halfLds_sp_ip_CI_unitstride_sbrr_R2C_dirReg
	.globl	fft_rtc_fwd_len2250_factors_10_3_5_3_5_wgs_90_tpt_90_halfLds_sp_ip_CI_unitstride_sbrr_R2C_dirReg
	.p2align	8
	.type	fft_rtc_fwd_len2250_factors_10_3_5_3_5_wgs_90_tpt_90_halfLds_sp_ip_CI_unitstride_sbrr_R2C_dirReg,@function
fft_rtc_fwd_len2250_factors_10_3_5_3_5_wgs_90_tpt_90_halfLds_sp_ip_CI_unitstride_sbrr_R2C_dirReg: ; @fft_rtc_fwd_len2250_factors_10_3_5_3_5_wgs_90_tpt_90_halfLds_sp_ip_CI_unitstride_sbrr_R2C_dirReg
; %bb.0:
	s_clause 0x2
	s_load_b128 s[4:7], s[0:1], 0x0
	s_load_b64 s[8:9], s[0:1], 0x50
	s_load_b64 s[10:11], s[0:1], 0x18
	v_mul_u32_u24_e32 v1, 0x2d9, v0
	v_mov_b32_e32 v3, 0
	s_delay_alu instid0(VALU_DEP_2) | instskip(NEXT) | instid1(VALU_DEP_1)
	v_lshrrev_b32_e32 v1, 16, v1
	v_add_nc_u32_e32 v5, ttmp9, v1
	v_mov_b32_e32 v1, 0
	v_mov_b32_e32 v2, 0
	;; [unrolled: 1-line block ×3, first 2 shown]
	s_wait_kmcnt 0x0
	v_cmp_lt_u64_e64 s2, s[6:7], 2
	s_delay_alu instid0(VALU_DEP_1)
	s_and_b32 vcc_lo, exec_lo, s2
	s_cbranch_vccnz .LBB0_8
; %bb.1:
	s_load_b64 s[2:3], s[0:1], 0x10
	v_mov_b32_e32 v1, 0
	v_mov_b32_e32 v2, 0
	s_add_nc_u64 s[12:13], s[10:11], 8
	s_mov_b64 s[14:15], 1
	s_wait_kmcnt 0x0
	s_add_nc_u64 s[16:17], s[2:3], 8
	s_mov_b32 s3, 0
.LBB0_2:                                ; =>This Inner Loop Header: Depth=1
	s_load_b64 s[18:19], s[16:17], 0x0
                                        ; implicit-def: $vgpr7_vgpr8
	s_mov_b32 s2, exec_lo
	s_wait_kmcnt 0x0
	v_or_b32_e32 v4, s19, v6
	s_delay_alu instid0(VALU_DEP_1)
	v_cmpx_ne_u64_e32 0, v[3:4]
	s_wait_alu 0xfffe
	s_xor_b32 s20, exec_lo, s2
	s_cbranch_execz .LBB0_4
; %bb.3:                                ;   in Loop: Header=BB0_2 Depth=1
	s_cvt_f32_u32 s2, s18
	s_cvt_f32_u32 s21, s19
	s_sub_nc_u64 s[24:25], 0, s[18:19]
	s_wait_alu 0xfffe
	s_delay_alu instid0(SALU_CYCLE_1) | instskip(SKIP_1) | instid1(SALU_CYCLE_2)
	s_fmamk_f32 s2, s21, 0x4f800000, s2
	s_wait_alu 0xfffe
	v_s_rcp_f32 s2, s2
	s_delay_alu instid0(TRANS32_DEP_1) | instskip(SKIP_1) | instid1(SALU_CYCLE_2)
	s_mul_f32 s2, s2, 0x5f7ffffc
	s_wait_alu 0xfffe
	s_mul_f32 s21, s2, 0x2f800000
	s_wait_alu 0xfffe
	s_delay_alu instid0(SALU_CYCLE_2) | instskip(SKIP_1) | instid1(SALU_CYCLE_2)
	s_trunc_f32 s21, s21
	s_wait_alu 0xfffe
	s_fmamk_f32 s2, s21, 0xcf800000, s2
	s_cvt_u32_f32 s23, s21
	s_wait_alu 0xfffe
	s_delay_alu instid0(SALU_CYCLE_1) | instskip(SKIP_1) | instid1(SALU_CYCLE_2)
	s_cvt_u32_f32 s22, s2
	s_wait_alu 0xfffe
	s_mul_u64 s[26:27], s[24:25], s[22:23]
	s_wait_alu 0xfffe
	s_mul_hi_u32 s29, s22, s27
	s_mul_i32 s28, s22, s27
	s_mul_hi_u32 s2, s22, s26
	s_mul_i32 s30, s23, s26
	s_wait_alu 0xfffe
	s_add_nc_u64 s[28:29], s[2:3], s[28:29]
	s_mul_hi_u32 s21, s23, s26
	s_mul_hi_u32 s31, s23, s27
	s_add_co_u32 s2, s28, s30
	s_wait_alu 0xfffe
	s_add_co_ci_u32 s2, s29, s21
	s_mul_i32 s26, s23, s27
	s_add_co_ci_u32 s27, s31, 0
	s_wait_alu 0xfffe
	s_add_nc_u64 s[26:27], s[2:3], s[26:27]
	s_wait_alu 0xfffe
	v_add_co_u32 v4, s2, s22, s26
	s_delay_alu instid0(VALU_DEP_1) | instskip(SKIP_1) | instid1(VALU_DEP_1)
	s_cmp_lg_u32 s2, 0
	s_add_co_ci_u32 s23, s23, s27
	v_readfirstlane_b32 s22, v4
	s_wait_alu 0xfffe
	s_delay_alu instid0(VALU_DEP_1)
	s_mul_u64 s[24:25], s[24:25], s[22:23]
	s_wait_alu 0xfffe
	s_mul_hi_u32 s27, s22, s25
	s_mul_i32 s26, s22, s25
	s_mul_hi_u32 s2, s22, s24
	s_mul_i32 s28, s23, s24
	s_wait_alu 0xfffe
	s_add_nc_u64 s[26:27], s[2:3], s[26:27]
	s_mul_hi_u32 s21, s23, s24
	s_mul_hi_u32 s22, s23, s25
	s_wait_alu 0xfffe
	s_add_co_u32 s2, s26, s28
	s_add_co_ci_u32 s2, s27, s21
	s_mul_i32 s24, s23, s25
	s_add_co_ci_u32 s25, s22, 0
	s_wait_alu 0xfffe
	s_add_nc_u64 s[24:25], s[2:3], s[24:25]
	s_wait_alu 0xfffe
	v_add_co_u32 v4, s2, v4, s24
	s_delay_alu instid0(VALU_DEP_1) | instskip(SKIP_1) | instid1(VALU_DEP_1)
	s_cmp_lg_u32 s2, 0
	s_add_co_ci_u32 s2, s23, s25
	v_mul_hi_u32 v13, v5, v4
	s_wait_alu 0xfffe
	v_mad_co_u64_u32 v[7:8], null, v5, s2, 0
	v_mad_co_u64_u32 v[9:10], null, v6, v4, 0
	;; [unrolled: 1-line block ×3, first 2 shown]
	s_delay_alu instid0(VALU_DEP_3) | instskip(SKIP_1) | instid1(VALU_DEP_4)
	v_add_co_u32 v4, vcc_lo, v13, v7
	s_wait_alu 0xfffd
	v_add_co_ci_u32_e32 v7, vcc_lo, 0, v8, vcc_lo
	s_delay_alu instid0(VALU_DEP_2) | instskip(SKIP_1) | instid1(VALU_DEP_2)
	v_add_co_u32 v4, vcc_lo, v4, v9
	s_wait_alu 0xfffd
	v_add_co_ci_u32_e32 v4, vcc_lo, v7, v10, vcc_lo
	s_wait_alu 0xfffd
	v_add_co_ci_u32_e32 v7, vcc_lo, 0, v12, vcc_lo
	s_delay_alu instid0(VALU_DEP_2) | instskip(SKIP_1) | instid1(VALU_DEP_2)
	v_add_co_u32 v4, vcc_lo, v4, v11
	s_wait_alu 0xfffd
	v_add_co_ci_u32_e32 v9, vcc_lo, 0, v7, vcc_lo
	s_delay_alu instid0(VALU_DEP_2) | instskip(SKIP_1) | instid1(VALU_DEP_3)
	v_mul_lo_u32 v10, s19, v4
	v_mad_co_u64_u32 v[7:8], null, s18, v4, 0
	v_mul_lo_u32 v11, s18, v9
	s_delay_alu instid0(VALU_DEP_2) | instskip(NEXT) | instid1(VALU_DEP_2)
	v_sub_co_u32 v7, vcc_lo, v5, v7
	v_add3_u32 v8, v8, v11, v10
	s_delay_alu instid0(VALU_DEP_1) | instskip(SKIP_1) | instid1(VALU_DEP_1)
	v_sub_nc_u32_e32 v10, v6, v8
	s_wait_alu 0xfffd
	v_subrev_co_ci_u32_e64 v10, s2, s19, v10, vcc_lo
	v_add_co_u32 v11, s2, v4, 2
	s_wait_alu 0xf1ff
	v_add_co_ci_u32_e64 v12, s2, 0, v9, s2
	v_sub_co_u32 v13, s2, v7, s18
	v_sub_co_ci_u32_e32 v8, vcc_lo, v6, v8, vcc_lo
	s_wait_alu 0xf1ff
	v_subrev_co_ci_u32_e64 v10, s2, 0, v10, s2
	s_delay_alu instid0(VALU_DEP_3) | instskip(NEXT) | instid1(VALU_DEP_3)
	v_cmp_le_u32_e32 vcc_lo, s18, v13
	v_cmp_eq_u32_e64 s2, s19, v8
	s_wait_alu 0xfffd
	v_cndmask_b32_e64 v13, 0, -1, vcc_lo
	v_cmp_le_u32_e32 vcc_lo, s19, v10
	s_wait_alu 0xfffd
	v_cndmask_b32_e64 v14, 0, -1, vcc_lo
	v_cmp_le_u32_e32 vcc_lo, s18, v7
	;; [unrolled: 3-line block ×3, first 2 shown]
	s_wait_alu 0xfffd
	v_cndmask_b32_e64 v15, 0, -1, vcc_lo
	v_cmp_eq_u32_e32 vcc_lo, s19, v10
	s_wait_alu 0xf1ff
	s_delay_alu instid0(VALU_DEP_2)
	v_cndmask_b32_e64 v7, v15, v7, s2
	s_wait_alu 0xfffd
	v_cndmask_b32_e32 v10, v14, v13, vcc_lo
	v_add_co_u32 v13, vcc_lo, v4, 1
	s_wait_alu 0xfffd
	v_add_co_ci_u32_e32 v14, vcc_lo, 0, v9, vcc_lo
	s_delay_alu instid0(VALU_DEP_3) | instskip(SKIP_2) | instid1(VALU_DEP_3)
	v_cmp_ne_u32_e32 vcc_lo, 0, v10
	s_wait_alu 0xfffd
	v_cndmask_b32_e32 v10, v13, v11, vcc_lo
	v_cndmask_b32_e32 v8, v14, v12, vcc_lo
	v_cmp_ne_u32_e32 vcc_lo, 0, v7
	s_wait_alu 0xfffd
	s_delay_alu instid0(VALU_DEP_2)
	v_dual_cndmask_b32 v7, v4, v10 :: v_dual_cndmask_b32 v8, v9, v8
.LBB0_4:                                ;   in Loop: Header=BB0_2 Depth=1
	s_wait_alu 0xfffe
	s_and_not1_saveexec_b32 s2, s20
	s_cbranch_execz .LBB0_6
; %bb.5:                                ;   in Loop: Header=BB0_2 Depth=1
	v_cvt_f32_u32_e32 v4, s18
	s_sub_co_i32 s20, 0, s18
	s_delay_alu instid0(VALU_DEP_1) | instskip(NEXT) | instid1(TRANS32_DEP_1)
	v_rcp_iflag_f32_e32 v4, v4
	v_mul_f32_e32 v4, 0x4f7ffffe, v4
	s_delay_alu instid0(VALU_DEP_1) | instskip(SKIP_1) | instid1(VALU_DEP_1)
	v_cvt_u32_f32_e32 v4, v4
	s_wait_alu 0xfffe
	v_mul_lo_u32 v7, s20, v4
	s_delay_alu instid0(VALU_DEP_1) | instskip(NEXT) | instid1(VALU_DEP_1)
	v_mul_hi_u32 v7, v4, v7
	v_add_nc_u32_e32 v4, v4, v7
	s_delay_alu instid0(VALU_DEP_1) | instskip(NEXT) | instid1(VALU_DEP_1)
	v_mul_hi_u32 v4, v5, v4
	v_mul_lo_u32 v7, v4, s18
	v_add_nc_u32_e32 v8, 1, v4
	s_delay_alu instid0(VALU_DEP_2) | instskip(NEXT) | instid1(VALU_DEP_1)
	v_sub_nc_u32_e32 v7, v5, v7
	v_subrev_nc_u32_e32 v9, s18, v7
	v_cmp_le_u32_e32 vcc_lo, s18, v7
	s_wait_alu 0xfffd
	s_delay_alu instid0(VALU_DEP_2) | instskip(NEXT) | instid1(VALU_DEP_1)
	v_dual_cndmask_b32 v7, v7, v9 :: v_dual_cndmask_b32 v4, v4, v8
	v_cmp_le_u32_e32 vcc_lo, s18, v7
	s_delay_alu instid0(VALU_DEP_2) | instskip(SKIP_1) | instid1(VALU_DEP_1)
	v_add_nc_u32_e32 v8, 1, v4
	s_wait_alu 0xfffd
	v_dual_cndmask_b32 v7, v4, v8 :: v_dual_mov_b32 v8, v3
.LBB0_6:                                ;   in Loop: Header=BB0_2 Depth=1
	s_wait_alu 0xfffe
	s_or_b32 exec_lo, exec_lo, s2
	s_load_b64 s[20:21], s[12:13], 0x0
	s_delay_alu instid0(VALU_DEP_1)
	v_mul_lo_u32 v4, v8, s18
	v_mul_lo_u32 v11, v7, s19
	v_mad_co_u64_u32 v[9:10], null, v7, s18, 0
	s_add_nc_u64 s[14:15], s[14:15], 1
	s_add_nc_u64 s[12:13], s[12:13], 8
	s_wait_alu 0xfffe
	v_cmp_ge_u64_e64 s2, s[14:15], s[6:7]
	s_add_nc_u64 s[16:17], s[16:17], 8
	s_delay_alu instid0(VALU_DEP_2) | instskip(NEXT) | instid1(VALU_DEP_3)
	v_add3_u32 v4, v10, v11, v4
	v_sub_co_u32 v5, vcc_lo, v5, v9
	s_wait_alu 0xfffd
	s_delay_alu instid0(VALU_DEP_2) | instskip(SKIP_3) | instid1(VALU_DEP_2)
	v_sub_co_ci_u32_e32 v4, vcc_lo, v6, v4, vcc_lo
	s_and_b32 vcc_lo, exec_lo, s2
	s_wait_kmcnt 0x0
	v_mul_lo_u32 v6, s21, v5
	v_mul_lo_u32 v4, s20, v4
	v_mad_co_u64_u32 v[1:2], null, s20, v5, v[1:2]
	s_delay_alu instid0(VALU_DEP_1)
	v_add3_u32 v2, v6, v2, v4
	s_wait_alu 0xfffe
	s_cbranch_vccnz .LBB0_9
; %bb.7:                                ;   in Loop: Header=BB0_2 Depth=1
	v_dual_mov_b32 v5, v7 :: v_dual_mov_b32 v6, v8
	s_branch .LBB0_2
.LBB0_8:
	v_dual_mov_b32 v8, v6 :: v_dual_mov_b32 v7, v5
.LBB0_9:
	s_lshl_b64 s[2:3], s[6:7], 3
	v_mul_hi_u32 v3, 0x2d82d83, v0
	s_wait_alu 0xfffe
	s_add_nc_u64 s[2:3], s[10:11], s[2:3]
	s_load_b64 s[2:3], s[2:3], 0x0
	s_load_b64 s[0:1], s[0:1], 0x20
	s_delay_alu instid0(VALU_DEP_1) | instskip(NEXT) | instid1(VALU_DEP_1)
	v_mul_u32_u24_e32 v3, 0x5a, v3
	v_sub_nc_u32_e32 v60, v0, v3
	s_delay_alu instid0(VALU_DEP_1)
	v_add_nc_u32_e32 v65, 0x5a, v60
	v_add_nc_u32_e32 v64, 0xb4, v60
	s_wait_kmcnt 0x0
	v_mul_lo_u32 v4, s2, v8
	v_mul_lo_u32 v5, s3, v7
	v_mad_co_u64_u32 v[1:2], null, s2, v7, v[1:2]
	v_cmp_gt_u64_e32 vcc_lo, s[0:1], v[7:8]
	v_cmp_le_u64_e64 s0, s[0:1], v[7:8]
	s_delay_alu instid0(VALU_DEP_3) | instskip(NEXT) | instid1(VALU_DEP_2)
	v_add3_u32 v2, v5, v2, v4
	s_and_saveexec_b32 s1, s0
	s_wait_alu 0xfffe
	s_xor_b32 s0, exec_lo, s1
; %bb.10:
	v_add_nc_u32_e32 v65, 0x5a, v60
	v_add_nc_u32_e32 v64, 0xb4, v60
; %bb.11:
	s_wait_alu 0xfffe
	s_or_saveexec_b32 s1, s0
	v_lshlrev_b64_e32 v[62:63], 3, v[1:2]
	v_lshl_add_u32 v67, v60, 3, 0
	s_wait_alu 0xfffe
	s_xor_b32 exec_lo, exec_lo, s1
	s_cbranch_execz .LBB0_13
; %bb.12:
	s_delay_alu instid0(VALU_DEP_1) | instskip(SKIP_3) | instid1(VALU_DEP_3)
	v_dual_mov_b32 v61, 0 :: v_dual_add_nc_u32 v50, 0x400, v67
	v_add_co_u32 v2, s0, s8, v62
	s_wait_alu 0xf1ff
	v_add_co_ci_u32_e64 v3, s0, s9, v63, s0
	v_lshlrev_b64_e32 v[0:1], 3, v[60:61]
	v_add_nc_u32_e32 v51, 0x800, v67
	v_add_nc_u32_e32 v52, 0x1000, v67
	;; [unrolled: 1-line block ×5, first 2 shown]
	v_add_co_u32 v0, s0, v2, v0
	s_wait_alu 0xf1ff
	v_add_co_ci_u32_e64 v1, s0, v3, v1, s0
	v_add_nc_u32_e32 v56, 0x2400, v67
	v_add_nc_u32_e32 v57, 0x2800, v67
	s_clause 0x18
	global_load_b64 v[2:3], v[0:1], off
	global_load_b64 v[4:5], v[0:1], off offset:720
	global_load_b64 v[6:7], v[0:1], off offset:1440
	;; [unrolled: 1-line block ×24, first 2 shown]
	v_add_nc_u32_e32 v58, 0x3000, v67
	v_add_nc_u32_e32 v59, 0x3800, v67
	;; [unrolled: 1-line block ×3, first 2 shown]
	s_wait_loadcnt 0x17
	ds_store_2addr_b64 v67, v[2:3], v[4:5] offset1:90
	s_wait_loadcnt 0x15
	ds_store_2addr_b64 v50, v[6:7], v[8:9] offset0:52 offset1:142
	s_wait_loadcnt 0x13
	ds_store_2addr_b64 v51, v[10:11], v[12:13] offset0:104 offset1:194
	;; [unrolled: 2-line block ×11, first 2 shown]
	s_wait_loadcnt 0x0
	ds_store_b64 v67, v[0:1] offset:17280
.LBB0_13:
	s_or_b32 exec_lo, exec_lo, s1
	v_add_nc_u32_e32 v61, 0xc00, v67
	v_add_nc_u32_e32 v68, 0x1800, v67
	;; [unrolled: 1-line block ×4, first 2 shown]
	global_wb scope:SCOPE_SE
	s_wait_dscnt 0x0
	s_barrier_signal -1
	s_barrier_wait -1
	global_inv scope:SCOPE_SE
	ds_load_2addr_b64 v[20:23], v67 offset1:90
	ds_load_2addr_b64 v[32:35], v61 offset0:66 offset1:156
	ds_load_2addr_b64 v[36:39], v68 offset0:132 offset1:222
	ds_load_2addr_b64 v[28:31], v69 offset0:70 offset1:160
	ds_load_2addr_b64 v[24:27], v66 offset0:8 offset1:98
	v_add_nc_u32_e32 v70, 0x1000, v67
	v_add_nc_u32_e32 v8, 0x2000, v67
	;; [unrolled: 1-line block ×4, first 2 shown]
	v_cmp_gt_u32_e64 s0, 45, v60
	s_wait_dscnt 0x3
	v_add_f32_e32 v40, v20, v32
	s_wait_dscnt 0x2
	v_sub_f32_e32 v45, v36, v32
	s_wait_dscnt 0x1
	v_add_f32_e32 v41, v36, v28
	s_wait_dscnt 0x0
	v_add_f32_e32 v101, v34, v26
	v_sub_f32_e32 v73, v33, v25
	v_sub_f32_e32 v43, v24, v28
	v_add_f32_e32 v40, v40, v36
	v_fma_f32 v71, -0.5, v41, v20
	v_add_f32_e32 v41, v21, v33
	ds_load_2addr_b64 v[0:3], v67 offset0:180 offset1:225
	ds_load_2addr_b64 v[4:7], v70 offset0:118 offset1:163
	;; [unrolled: 1-line block ×5, first 2 shown]
	v_dual_sub_f32 v42, v32, v36 :: v_dual_add_f32 v47, v37, v29
	v_dual_sub_f32 v46, v28, v24 :: v_dual_add_f32 v41, v41, v37
	v_add_f32_e32 v44, v32, v24
	v_add_f32_e32 v40, v40, v28
	v_sub_f32_e32 v72, v37, v29
	v_sub_f32_e32 v32, v32, v24
	v_fmamk_f32 v78, v73, 0x3f737871, v71
	v_add_f32_e32 v77, v45, v46
	v_fma_f32 v75, -0.5, v44, v20
	v_fma_f32 v20, -0.5, v47, v21
	v_add_f32_e32 v80, v40, v24
	v_sub_f32_e32 v24, v36, v28
	v_sub_f32_e32 v28, v33, v37
	;; [unrolled: 1-line block ×3, first 2 shown]
	s_wait_dscnt 0x2
	v_dual_add_f32 v40, v41, v29 :: v_dual_sub_f32 v93, v7, v11
	s_wait_dscnt 0x1
	v_dual_add_f32 v41, v10, v14 :: v_dual_add_f32 v48, v33, v25
	v_fmamk_f32 v79, v32, 0xbf737871, v20
	v_sub_f32_e32 v33, v37, v33
	v_sub_f32_e32 v37, v29, v25
	s_wait_dscnt 0x0
	v_dual_sub_f32 v29, v7, v19 :: v_dual_fmac_f32 v78, 0x3f167918, v72
	v_add_f32_e32 v82, v40, v25
	s_delay_alu instid0(VALU_DEP_3)
	v_dual_sub_f32 v88, v6, v18 :: v_dual_add_f32 v33, v33, v37
	v_dual_sub_f32 v37, v11, v15 :: v_dual_add_f32 v36, v28, v36
	v_fma_f32 v28, -0.5, v41, v2
	v_sub_f32_e32 v41, v18, v14
	v_dual_sub_f32 v92, v10, v14 :: v_dual_sub_f32 v81, v39, v31
	v_add_f32_e32 v95, v38, v30
	s_delay_alu instid0(VALU_DEP_4) | instskip(SKIP_2) | instid1(VALU_DEP_3)
	v_dual_fmamk_f32 v83, v29, 0x3f737871, v28 :: v_dual_add_f32 v74, v42, v43
	v_dual_fmac_f32 v79, 0xbf167918, v24 :: v_dual_add_f32 v42, v2, v6
	v_add_f32_e32 v43, v22, v34
	v_fmac_f32_e32 v83, 0x3f167918, v37
	v_fma_f32 v21, -0.5, v48, v21
	v_sub_f32_e32 v99, v38, v30
	v_dual_add_f32 v25, v42, v10 :: v_dual_add_f32 v42, v11, v15
	v_sub_f32_e32 v84, v34, v38
	v_sub_f32_e32 v103, v26, v30
	;; [unrolled: 1-line block ×3, first 2 shown]
	s_delay_alu instid0(VALU_DEP_4) | instskip(SKIP_3) | instid1(VALU_DEP_3)
	v_add_f32_e32 v85, v25, v14
	v_fma_f32 v86, -0.5, v42, v3
	v_dual_sub_f32 v40, v6, v10 :: v_dual_add_f32 v25, v3, v7
	v_dual_sub_f32 v89, v10, v6 :: v_dual_add_f32 v10, v23, v35
	v_fmamk_f32 v91, v88, 0xbf737871, v86
	s_delay_alu instid0(VALU_DEP_3) | instskip(SKIP_1) | instid1(VALU_DEP_4)
	v_dual_add_f32 v87, v40, v41 :: v_dual_add_f32 v40, v43, v38
	v_add_nc_u32_e32 v41, 0x4000, v67
	v_add_f32_e32 v97, v10, v39
	v_add_nc_u32_e32 v10, 0x800, v67
	v_add_f32_e32 v90, v25, v11
	v_add_f32_e32 v94, v40, v30
	v_add_nc_u32_e32 v40, 0x1400, v67
	ds_load_2addr_b64 v[48:51], v40 offset0:125 offset1:215
	ds_load_2addr_b64 v[44:47], v41 offset0:67 offset1:157
	v_add_nc_u32_e32 v25, 0x3000, v67
	ds_load_2addr_b64 v[56:59], v76 offset0:63 offset1:153
	ds_load_2addr_b64 v[52:55], v25 offset0:129 offset1:219
	;; [unrolled: 1-line block ×3, first 2 shown]
	v_add_f32_e32 v98, v39, v31
	v_sub_f32_e32 v38, v39, v35
	v_sub_f32_e32 v102, v34, v26
	v_add_f32_e32 v34, v35, v27
	v_sub_f32_e32 v100, v35, v39
	v_sub_f32_e32 v39, v35, v27
	v_add_f32_e32 v35, v97, v31
	v_sub_f32_e32 v97, v30, v26
	v_add_f32_e32 v94, v94, v26
	v_sub_f32_e32 v104, v27, v31
	v_sub_f32_e32 v30, v31, v27
	v_add_f32_e32 v105, v35, v27
	v_fma_f32 v98, -0.5, v98, v23
	s_wait_dscnt 0x3
	v_dual_add_f32 v26, v49, v45 :: v_dual_sub_f32 v111, v48, v44
	v_fmac_f32_e32 v91, 0xbf167918, v92
	v_fmac_f32_e32 v83, 0x3e9e377a, v87
	s_wait_dscnt 0x2
	v_sub_f32_e32 v27, v56, v48
	s_wait_dscnt 0x1
	v_sub_f32_e32 v31, v52, v44
	v_dual_fmac_f32 v23, -0.5, v34 :: v_dual_add_f32 v34, v48, v44
	v_sub_f32_e32 v109, v57, v53
	s_wait_dscnt 0x0
	v_fma_f32 v106, -0.5, v26, v41
	v_dual_sub_f32 v107, v56, v52 :: v_dual_sub_f32 v26, v57, v49
	v_add_f32_e32 v115, v27, v31
	v_sub_f32_e32 v35, v53, v45
	v_fma_f32 v108, -0.5, v34, v40
	s_delay_alu instid0(VALU_DEP_4) | instskip(SKIP_1) | instid1(VALU_DEP_3)
	v_dual_fmamk_f32 v110, v107, 0x3f737871, v106 :: v_dual_add_f32 v117, v38, v30
	v_sub_f32_e32 v114, v49, v45
	v_dual_add_f32 v112, v26, v35 :: v_dual_fmamk_f32 v113, v109, 0xbf737871, v108
	v_sub_f32_e32 v26, v19, v15
	v_fmac_f32_e32 v106, 0xbf737871, v107
	v_fmac_f32_e32 v108, 0x3f737871, v109
	v_fmamk_f32 v116, v99, 0x3f737871, v23
	v_fmac_f32_e32 v23, 0xbf737871, v99
	s_delay_alu instid0(VALU_DEP_4) | instskip(NEXT) | instid1(VALU_DEP_4)
	v_dual_add_f32 v35, v93, v26 :: v_dual_fmac_f32 v106, 0x3f167918, v111
	v_fmac_f32_e32 v108, 0xbf167918, v114
	v_fma_f32 v93, -0.5, v95, v22
	s_delay_alu instid0(VALU_DEP_4)
	v_fmac_f32_e32 v23, 0x3f167918, v102
	v_mul_f32_e32 v95, 0x3f4f1bbd, v83
	v_fmac_f32_e32 v106, 0x3e9e377a, v112
	v_fmac_f32_e32 v108, 0x3e9e377a, v115
	v_mul_f32_e32 v83, 0xbf167918, v83
	v_dual_fmac_f32 v23, 0x3e9e377a, v117 :: v_dual_fmac_f32 v78, 0x3e9e377a, v74
	v_fmac_f32_e32 v79, 0x3e9e377a, v36
	v_mul_f32_e32 v27, 0x3e9e377a, v106
	v_dual_add_f32 v6, v6, v18 :: v_dual_sub_f32 v11, v11, v7
	v_dual_add_f32 v7, v7, v19 :: v_dual_fmac_f32 v28, 0xbf737871, v29
	s_delay_alu instid0(VALU_DEP_3)
	v_fma_f32 v26, 0xbf737871, v108, -v27
	v_fmac_f32_e32 v91, 0x3e9e377a, v35
	v_add_f32_e32 v27, v90, v15
	v_fma_f32 v90, -0.5, v101, v22
	v_fma_f32 v2, -0.5, v6, v2
	v_add_f32_e32 v34, v23, v26
	v_sub_f32_e32 v38, v23, v26
	v_dual_add_f32 v26, v85, v18 :: v_dual_fmac_f32 v83, 0x3f4f1bbd, v91
	v_fmac_f32_e32 v95, 0x3f167918, v91
	v_fmac_f32_e32 v71, 0xbf737871, v73
	v_dual_add_f32 v27, v27, v19 :: v_dual_sub_f32 v14, v14, v18
	s_delay_alu instid0(VALU_DEP_4)
	v_add_f32_e32 v22, v80, v26
	v_dual_sub_f32 v26, v80, v26 :: v_dual_add_f32 v31, v79, v83
	v_fmamk_f32 v80, v24, 0x3f737871, v21
	v_dual_fmac_f32 v21, 0xbf737871, v24 :: v_dual_add_f32 v30, v78, v95
	v_fma_f32 v3, -0.5, v7, v3
	v_fmamk_f32 v7, v37, 0xbf737871, v2
	v_dual_fmac_f32 v28, 0xbf167918, v37 :: v_dual_fmac_f32 v71, 0xbf167918, v72
	v_dual_fmac_f32 v20, 0x3f737871, v32 :: v_dual_add_f32 v23, v82, v27
	v_dual_sub_f32 v27, v82, v27 :: v_dual_add_f32 v14, v89, v14
	s_delay_alu instid0(VALU_DEP_4)
	v_dual_sub_f32 v78, v78, v95 :: v_dual_fmac_f32 v7, 0x3f167918, v29
	v_fmac_f32_e32 v86, 0x3f737871, v88
	v_fmac_f32_e32 v71, 0x3e9e377a, v74
	v_dual_fmac_f32 v20, 0x3f167918, v24 :: v_dual_sub_f32 v79, v79, v83
	v_fmamk_f32 v6, v92, 0x3f737871, v3
	v_fmac_f32_e32 v7, 0x3e9e377a, v14
	v_fmac_f32_e32 v80, 0xbf167918, v32
	s_delay_alu instid0(VALU_DEP_4)
	v_fmac_f32_e32 v20, 0x3e9e377a, v36
	v_fmac_f32_e32 v21, 0x3f167918, v32
	;; [unrolled: 1-line block ×3, first 2 shown]
	v_mul_f32_e32 v18, 0xbf737871, v7
	v_sub_f32_e32 v15, v15, v19
	v_fmamk_f32 v19, v72, 0xbf737871, v75
	s_delay_alu instid0(VALU_DEP_4) | instskip(SKIP_1) | instid1(VALU_DEP_4)
	v_dual_fmac_f32 v21, 0x3e9e377a, v33 :: v_dual_fmac_f32 v86, 0x3e9e377a, v35
	v_fmac_f32_e32 v75, 0x3f737871, v72
	v_dual_fmac_f32 v6, 0xbf167918, v88 :: v_dual_add_f32 v11, v11, v15
	v_fmac_f32_e32 v28, 0x3e9e377a, v87
	v_fmac_f32_e32 v2, 0x3f737871, v37
	s_delay_alu instid0(VALU_DEP_4)
	v_fmac_f32_e32 v75, 0xbf167918, v73
	v_fmac_f32_e32 v3, 0xbf737871, v92
	;; [unrolled: 1-line block ×3, first 2 shown]
	v_add_f32_e32 v24, v40, v48
	v_fmac_f32_e32 v110, 0xbf167918, v111
	v_fmac_f32_e32 v75, 0x3e9e377a, v77
	;; [unrolled: 1-line block ×6, first 2 shown]
	v_sub_f32_e32 v29, v44, v52
	v_fmac_f32_e32 v19, 0x3e9e377a, v77
	v_mul_f32_e32 v15, 0x3f737871, v6
	v_fmac_f32_e32 v2, 0x3e9e377a, v14
	v_dual_fmac_f32 v18, 0x3e9e377a, v6 :: v_dual_fmac_f32 v3, 0x3e9e377a, v11
	s_delay_alu instid0(VALU_DEP_3) | instskip(NEXT) | instid1(VALU_DEP_3)
	v_dual_fmac_f32 v110, 0x3e9e377a, v112 :: v_dual_fmac_f32 v15, 0x3e9e377a, v7
	v_mul_f32_e32 v11, 0x3e9e377a, v2
	s_delay_alu instid0(VALU_DEP_3) | instskip(SKIP_1) | instid1(VALU_DEP_4)
	v_add_f32_e32 v7, v80, v18
	v_dual_sub_f32 v83, v80, v18 :: v_dual_mul_f32 v18, 0x3e9e377a, v108
	v_add_f32_e32 v6, v19, v15
	v_sub_f32_e32 v82, v19, v15
	v_fma_f32 v11, 0x3f737871, v3, -v11
	v_fmac_f32_e32 v116, 0xbf167918, v102
	v_fma_f32 v18, 0x3f737871, v106, -v18
	global_wb scope:SCOPE_SE
	s_barrier_signal -1
	v_add_f32_e32 v14, v75, v11
	v_sub_f32_e32 v87, v75, v11
	v_fmamk_f32 v11, v81, 0xbf737871, v90
	v_fmac_f32_e32 v90, 0x3f737871, v81
	s_barrier_wait -1
	global_inv scope:SCOPE_SE
	v_fmac_f32_e32 v113, 0x3f167918, v114
	v_fmac_f32_e32 v90, 0xbf167918, v39
	v_mul_f32_e32 v3, 0x3e9e377a, v3
	s_delay_alu instid0(VALU_DEP_3) | instskip(NEXT) | instid1(VALU_DEP_2)
	v_fmac_f32_e32 v113, 0x3e9e377a, v115
	v_fma_f32 v2, 0xbf737871, v2, -v3
	v_mul_u32_u24_e32 v3, 10, v60
	s_delay_alu instid0(VALU_DEP_2) | instskip(NEXT) | instid1(VALU_DEP_2)
	v_add_f32_e32 v15, v21, v2
	v_lshl_add_u32 v77, v3, 3, 0
	v_dual_mul_f32 v3, 0x3f4f1bbd, v28 :: v_dual_sub_f32 v88, v21, v2
	v_dual_mul_f32 v2, 0x3f4f1bbd, v86 :: v_dual_add_f32 v21, v96, v97
	ds_store_2addr_b64 v77, v[22:23], v[30:31] offset1:1
	ds_store_2addr_b64 v77, v[6:7], v[14:15] offset0:2 offset1:3
	v_fma_f32 v3, 0x3f167918, v86, -v3
	v_sub_f32_e32 v7, v5, v17
	v_fma_f32 v2, 0xbf167918, v28, -v2
	v_add_f32_e32 v28, v41, v49
	s_delay_alu instid0(VALU_DEP_4) | instskip(NEXT) | instid1(VALU_DEP_3)
	v_dual_fmac_f32 v90, 0x3e9e377a, v21 :: v_dual_add_f32 v35, v71, v3
	v_dual_sub_f32 v19, v71, v3 :: v_dual_add_f32 v36, v20, v2
	v_sub_f32_e32 v20, v20, v2
	v_add_f32_e32 v2, v24, v56
	v_add_f32_e32 v3, v28, v57
	v_dual_add_f32 v33, v90, v18 :: v_dual_sub_f32 v24, v48, v56
	v_dual_sub_f32 v37, v90, v18 :: v_dual_add_f32 v28, v57, v53
	v_add_f32_e32 v18, v56, v52
	s_delay_alu instid0(VALU_DEP_4) | instskip(SKIP_1) | instid1(VALU_DEP_4)
	v_dual_add_f32 v2, v2, v52 :: v_dual_add_f32 v3, v3, v53
	v_add_f32_e32 v48, v100, v104
	v_fma_f32 v28, -0.5, v28, v41
	s_delay_alu instid0(VALU_DEP_4) | instskip(NEXT) | instid1(VALU_DEP_4)
	v_fma_f32 v18, -0.5, v18, v40
	v_dual_add_f32 v2, v2, v44 :: v_dual_add_f32 v3, v3, v45
	s_delay_alu instid0(VALU_DEP_3) | instskip(NEXT) | instid1(VALU_DEP_3)
	v_dual_add_f32 v24, v24, v29 :: v_dual_fmamk_f32 v41, v111, 0xbf737871, v28
	v_dual_fmamk_f32 v32, v114, 0x3f737871, v18 :: v_dual_sub_f32 v29, v49, v57
	s_delay_alu instid0(VALU_DEP_3) | instskip(NEXT) | instid1(VALU_DEP_3)
	v_add_f32_e32 v52, v94, v2
	v_dual_sub_f32 v40, v45, v53 :: v_dual_fmac_f32 v41, 0xbf167918, v107
	s_delay_alu instid0(VALU_DEP_3) | instskip(NEXT) | instid1(VALU_DEP_2)
	v_dual_fmac_f32 v32, 0x3f167918, v109 :: v_dual_add_f32 v53, v105, v3
	v_dual_fmac_f32 v18, 0xbf737871, v114 :: v_dual_add_f32 v29, v29, v40
	v_fmamk_f32 v40, v39, 0x3f737871, v93
	v_fmac_f32_e32 v93, 0xbf737871, v39
	s_delay_alu instid0(VALU_DEP_4)
	v_dual_fmac_f32 v32, 0x3e9e377a, v24 :: v_dual_sub_f32 v71, v94, v2
	v_dual_add_f32 v2, v84, v103 :: v_dual_fmamk_f32 v45, v102, 0xbf737871, v98
	v_dual_sub_f32 v72, v105, v3 :: v_dual_mul_f32 v3, 0x3f737871, v110
	v_fmac_f32_e32 v40, 0x3f167918, v81
	v_fmac_f32_e32 v93, 0xbf167918, v81
	;; [unrolled: 1-line block ×8, first 2 shown]
	v_dual_fmac_f32 v11, 0x3e9e377a, v21 :: v_dual_fmac_f32 v40, 0x3e9e377a, v2
	v_fmac_f32_e32 v45, 0x3e9e377a, v48
	v_add_f32_e32 v2, v8, v12
	s_delay_alu instid0(VALU_DEP_4) | instskip(NEXT) | instid1(VALU_DEP_4)
	v_fmac_f32_e32 v18, 0x3e9e377a, v24
	v_dual_mul_f32 v44, 0x3f4f1bbd, v32 :: v_dual_add_f32 v89, v11, v3
	v_mul_f32_e32 v32, 0xbf167918, v32
	v_sub_f32_e32 v15, v4, v8
	v_fma_f32 v2, -0.5, v2, v0
	v_add_f32_e32 v21, v1, v5
	v_sub_f32_e32 v23, v5, v9
	v_fmac_f32_e32 v32, 0x3f4f1bbd, v41
	v_fmac_f32_e32 v44, 0x3f167918, v41
	v_mul_f32_e32 v41, 0xbf737871, v113
	v_fmac_f32_e32 v116, 0x3e9e377a, v117
	v_add_f32_e32 v21, v21, v9
	v_sub_f32_e32 v85, v45, v32
	v_add_f32_e32 v73, v40, v44
	v_dual_fmac_f32 v41, 0x3e9e377a, v110 :: v_dual_add_f32 v74, v45, v32
	s_delay_alu instid0(VALU_DEP_4) | instskip(SKIP_1) | instid1(VALU_DEP_3)
	v_dual_fmac_f32 v28, 0x3f737871, v111 :: v_dual_add_f32 v21, v21, v13
	v_sub_f32_e32 v22, v8, v12
	v_sub_f32_e32 v81, v116, v41
	v_add_f32_e32 v90, v116, v41
	s_delay_alu instid0(VALU_DEP_4)
	v_fmac_f32_e32 v28, 0x3f167918, v107
	ds_store_2addr_b64 v77, v[35:36], v[26:27] offset0:4 offset1:5
	ds_store_2addr_b64 v77, v[78:79], v[82:83] offset0:6 offset1:7
	;; [unrolled: 1-line block ×3, first 2 shown]
	v_sub_f32_e32 v19, v50, v58
	v_mul_i32_i24_e32 v20, 10, v65
	v_fmac_f32_e32 v28, 0x3e9e377a, v29
	v_dual_sub_f32 v80, v11, v3 :: v_dual_mul_f32 v3, 0x3f4f1bbd, v18
	v_add_f32_e32 v32, v42, v50
	s_delay_alu instid0(VALU_DEP_4) | instskip(NEXT) | instid1(VALU_DEP_4)
	v_lshl_add_u32 v57, v20, 3, 0
	v_mul_f32_e32 v11, 0x3f4f1bbd, v28
	v_sub_f32_e32 v27, v50, v46
	v_sub_f32_e32 v30, v58, v54
	v_add_f32_e32 v32, v32, v58
	v_sub_f32_e32 v84, v40, v44
	v_fma_f32 v11, 0xbf167918, v18, -v11
	v_add_f32_e32 v18, v0, v4
	s_delay_alu instid0(VALU_DEP_4) | instskip(NEXT) | instid1(VALU_DEP_2)
	v_add_f32_e32 v32, v32, v54
	v_add_f32_e32 v6, v18, v8
	v_sub_f32_e32 v18, v16, v12
	s_delay_alu instid0(VALU_DEP_1)
	v_add_f32_e32 v15, v15, v18
	v_fma_f32 v3, 0x3f167918, v28, -v3
	v_fmac_f32_e32 v98, 0x3f737871, v102
	v_sub_f32_e32 v14, v9, v13
	v_sub_f32_e32 v18, v4, v16
	;; [unrolled: 1-line block ×3, first 2 shown]
	v_add_f32_e32 v91, v93, v3
	v_sub_f32_e32 v93, v93, v3
	v_fmac_f32_e32 v98, 0x3f167918, v99
	v_fmamk_f32 v3, v7, 0x3f737871, v2
	s_delay_alu instid0(VALU_DEP_2) | instskip(NEXT) | instid1(VALU_DEP_1)
	v_fmac_f32_e32 v98, 0x3e9e377a, v48
	v_dual_fmac_f32 v3, 0x3f167918, v14 :: v_dual_add_f32 v92, v98, v11
	v_dual_sub_f32 v94, v98, v11 :: v_dual_add_f32 v11, v9, v13
	s_delay_alu instid0(VALU_DEP_2)
	v_fmac_f32_e32 v3, 0x3e9e377a, v15
	ds_store_2addr_b64 v57, v[52:53], v[73:74] offset1:1
	ds_store_2addr_b64 v57, v[89:90], v[33:34] offset0:2 offset1:3
	ds_store_2addr_b64 v57, v[91:92], v[71:72] offset0:4 offset1:5
	;; [unrolled: 1-line block ×4, first 2 shown]
	v_fma_f32 v29, -0.5, v11, v1
	v_fmac_f32_e32 v2, 0xbf737871, v7
	v_add_f32_e32 v6, v6, v12
	s_delay_alu instid0(VALU_DEP_3) | instskip(SKIP_1) | instid1(VALU_DEP_1)
	v_fmamk_f32 v11, v18, 0xbf737871, v29
	v_dual_fmac_f32 v29, 0x3f737871, v18 :: v_dual_sub_f32 v24, v17, v13
	v_dual_fmac_f32 v2, 0xbf167918, v14 :: v_dual_add_f32 v23, v23, v24
	s_delay_alu instid0(VALU_DEP_1) | instskip(NEXT) | instid1(VALU_DEP_4)
	v_dual_fmac_f32 v2, 0x3e9e377a, v15 :: v_dual_add_f32 v15, v21, v17
	v_dual_add_f32 v6, v6, v16 :: v_dual_fmac_f32 v11, 0xbf167918, v22
	v_add_f32_e32 v26, v58, v54
	v_fmac_f32_e32 v29, 0x3f167918, v22
	s_delay_alu instid0(VALU_DEP_3) | instskip(NEXT) | instid1(VALU_DEP_3)
	v_dual_sub_f32 v24, v46, v54 :: v_dual_fmac_f32 v11, 0x3e9e377a, v23
	v_fma_f32 v31, -0.5, v26, v42
	v_sub_f32_e32 v26, v51, v47
	s_delay_alu instid0(VALU_DEP_4) | instskip(SKIP_2) | instid1(VALU_DEP_4)
	v_fmac_f32_e32 v29, 0x3e9e377a, v23
	v_add_f32_e32 v23, v59, v55
	v_add_f32_e32 v19, v19, v24
	v_dual_sub_f32 v24, v47, v55 :: v_dual_fmamk_f32 v21, v26, 0x3f737871, v31
	v_fmac_f32_e32 v31, 0xbf737871, v26
	s_delay_alu instid0(VALU_DEP_4) | instskip(SKIP_1) | instid1(VALU_DEP_4)
	v_fma_f32 v20, -0.5, v23, v43
	v_sub_f32_e32 v23, v51, v59
	v_fmac_f32_e32 v21, 0x3f167918, v28
	s_delay_alu instid0(VALU_DEP_3) | instskip(NEXT) | instid1(VALU_DEP_3)
	v_fmamk_f32 v35, v27, 0xbf737871, v20
	v_dual_fmac_f32 v20, 0x3f737871, v27 :: v_dual_add_f32 v23, v23, v24
	v_dual_add_f32 v24, v43, v51 :: v_dual_fmac_f32 v31, 0xbf167918, v28
	s_delay_alu instid0(VALU_DEP_4) | instskip(NEXT) | instid1(VALU_DEP_3)
	v_fmac_f32_e32 v21, 0x3e9e377a, v19
	v_fmac_f32_e32 v20, 0x3f167918, v30
	;; [unrolled: 1-line block ×3, first 2 shown]
	s_delay_alu instid0(VALU_DEP_4) | instskip(SKIP_1) | instid1(VALU_DEP_4)
	v_fmac_f32_e32 v31, 0x3e9e377a, v19
	v_add_f32_e32 v19, v24, v59
	v_fmac_f32_e32 v20, 0x3e9e377a, v23
	s_delay_alu instid0(VALU_DEP_4) | instskip(NEXT) | instid1(VALU_DEP_4)
	v_fmac_f32_e32 v35, 0x3e9e377a, v23
	v_mul_f32_e32 v24, 0x3f4f1bbd, v31
	s_delay_alu instid0(VALU_DEP_3) | instskip(NEXT) | instid1(VALU_DEP_2)
	v_dual_add_f32 v36, v19, v55 :: v_dual_mul_f32 v23, 0x3f4f1bbd, v20
	v_fma_f32 v19, 0x3f167918, v20, -v24
	v_mul_f32_e32 v20, 0x3f4f1bbd, v21
	s_delay_alu instid0(VALU_DEP_2) | instskip(NEXT) | instid1(VALU_DEP_2)
	v_add_f32_e32 v44, v2, v19
	v_fmac_f32_e32 v20, 0x3f167918, v35
	s_delay_alu instid0(VALU_DEP_1) | instskip(SKIP_1) | instid1(VALU_DEP_1)
	v_sub_f32_e32 v48, v3, v20
	v_dual_mul_f32 v24, 0xbf167918, v21 :: v_dual_add_f32 v21, v32, v46
	v_fmac_f32_e32 v24, 0x3f4f1bbd, v35
	s_delay_alu instid0(VALU_DEP_2) | instskip(SKIP_2) | instid1(VALU_DEP_4)
	v_sub_f32_e32 v40, v6, v21
	v_fma_f32 v31, 0xbf167918, v31, -v23
	v_add_f32_e32 v23, v36, v47
	v_sub_f32_e32 v49, v11, v24
	s_delay_alu instid0(VALU_DEP_3) | instskip(NEXT) | instid1(VALU_DEP_3)
	v_add_f32_e32 v45, v29, v31
	v_sub_f32_e32 v41, v15, v23
	s_and_saveexec_b32 s1, s0
	s_cbranch_execz .LBB0_15
; %bb.14:
	v_dual_add_f32 v32, v51, v47 :: v_dual_sub_f32 v9, v9, v5
	v_sub_f32_e32 v29, v29, v31
	v_dual_add_f32 v5, v5, v17 :: v_dual_sub_f32 v34, v55, v47
	s_delay_alu instid0(VALU_DEP_3) | instskip(SKIP_1) | instid1(VALU_DEP_3)
	v_dual_fmac_f32 v43, -0.5, v32 :: v_dual_sub_f32 v36, v54, v46
	v_sub_f32_e32 v32, v58, v50
	v_fma_f32 v5, -0.5, v5, v1
	v_sub_f32_e32 v1, v13, v17
	s_delay_alu instid0(VALU_DEP_4) | instskip(SKIP_4) | instid1(VALU_DEP_4)
	v_fmamk_f32 v35, v30, 0xbf737871, v43
	v_fmac_f32_e32 v43, 0x3f737871, v30
	v_add_f32_e32 v13, v32, v36
	v_add_f32_e32 v31, v50, v46
	v_fmamk_f32 v17, v22, 0xbf737871, v5
	v_fmac_f32_e32 v43, 0xbf167918, v27
	s_delay_alu instid0(VALU_DEP_3) | instskip(SKIP_1) | instid1(VALU_DEP_1)
	v_fma_f32 v31, -0.5, v31, v42
	v_sub_f32_e32 v33, v59, v51
	v_dual_add_f32 v33, v33, v34 :: v_dual_fmamk_f32 v34, v28, 0x3f737871, v31
	v_dual_fmac_f32 v31, 0xbf737871, v28 :: v_dual_sub_f32 v28, v2, v19
	s_delay_alu instid0(VALU_DEP_2) | instskip(NEXT) | instid1(VALU_DEP_2)
	v_fmac_f32_e32 v34, 0xbf167918, v26
	v_dual_fmac_f32 v31, 0x3f167918, v26 :: v_dual_add_f32 v26, v4, v16
	v_dual_fmac_f32 v35, 0x3f167918, v27 :: v_dual_sub_f32 v4, v8, v4
	v_fmac_f32_e32 v43, 0x3e9e377a, v33
	v_fmac_f32_e32 v5, 0x3f737871, v22
	s_delay_alu instid0(VALU_DEP_4) | instskip(SKIP_1) | instid1(VALU_DEP_4)
	v_dual_fmac_f32 v0, -0.5, v26 :: v_dual_add_f32 v9, v9, v1
	v_dual_sub_f32 v8, v12, v16 :: v_dual_fmac_f32 v17, 0x3f167918, v18
	v_mul_f32_e32 v26, 0x3f737871, v43
	s_delay_alu instid0(VALU_DEP_4) | instskip(NEXT) | instid1(VALU_DEP_4)
	v_fmac_f32_e32 v5, 0xbf167918, v18
	v_fmamk_f32 v18, v14, 0x3f737871, v0
	v_fmac_f32_e32 v34, 0x3e9e377a, v13
	v_fmac_f32_e32 v0, 0xbf737871, v14
	v_dual_fmac_f32 v35, 0x3e9e377a, v33 :: v_dual_add_f32 v8, v4, v8
	s_delay_alu instid0(VALU_DEP_4) | instskip(SKIP_1) | instid1(VALU_DEP_4)
	v_fmac_f32_e32 v18, 0xbf167918, v7
	v_fmac_f32_e32 v5, 0x3e9e377a, v9
	;; [unrolled: 1-line block ×4, first 2 shown]
	v_dual_mul_f32 v9, 0x3e9e377a, v34 :: v_dual_add_f32 v14, v11, v24
	v_dual_fmac_f32 v31, 0x3e9e377a, v13 :: v_dual_add_f32 v16, v15, v23
	v_dual_mul_f32 v1, 0x3e9e377a, v35 :: v_dual_fmac_f32 v18, 0x3e9e377a, v8
	s_delay_alu instid0(VALU_DEP_3) | instskip(NEXT) | instid1(VALU_DEP_3)
	v_fma_f32 v9, 0x3f737871, v35, -v9
	v_mul_f32_e32 v13, 0xbf737871, v31
	v_fmac_f32_e32 v0, 0x3e9e377a, v8
	s_delay_alu instid0(VALU_DEP_4) | instskip(SKIP_1) | instid1(VALU_DEP_4)
	v_fma_f32 v22, 0xbf737871, v34, -v1
	v_dual_fmac_f32 v26, 0x3e9e377a, v31 :: v_dual_add_f32 v15, v6, v21
	v_fmac_f32_e32 v13, 0x3e9e377a, v43
	v_add_f32_e32 v7, v18, v9
	s_delay_alu instid0(VALU_DEP_4) | instskip(SKIP_1) | instid1(VALU_DEP_4)
	v_sub_f32_e32 v1, v17, v22
	v_add_f32_e32 v8, v17, v22
	v_dual_add_f32 v11, v0, v26 :: v_dual_sub_f32 v4, v5, v13
	v_add_f32_e32 v12, v5, v13
	v_mul_i32_i24_e32 v5, 10, v64
	v_add_f32_e32 v13, v3, v20
	v_dual_sub_f32 v3, v0, v26 :: v_dual_sub_f32 v0, v18, v9
	s_delay_alu instid0(VALU_DEP_3)
	v_lshl_add_u32 v5, v5, 3, 0
	ds_store_2addr_b64 v5, v[15:16], v[13:14] offset1:1
	ds_store_2addr_b64 v5, v[11:12], v[7:8] offset0:2 offset1:3
	ds_store_2addr_b64 v5, v[44:45], v[40:41] offset0:4 offset1:5
	;; [unrolled: 1-line block ×4, first 2 shown]
.LBB0_15:
	s_wait_alu 0xfffe
	s_or_b32 exec_lo, exec_lo, s1
	v_mad_i32_i24 v4, 0xffffffb8, v65, v57
	v_lshl_add_u32 v56, v64, 3, 0
	v_add_nc_u32_e32 v5, 0x1c00, v67
	v_add_nc_u32_e32 v6, 0x3400, v67
	global_wb scope:SCOPE_SE
	s_wait_dscnt 0x0
	s_barrier_signal -1
	s_barrier_wait -1
	global_inv scope:SCOPE_SE
	ds_load_2addr_b64 v[0:3], v70 offset0:118 offset1:238
	ds_load_2addr_b64 v[12:15], v69 offset0:100 offset1:220
	;; [unrolled: 1-line block ×4, first 2 shown]
	ds_load_b64 v[42:43], v67 offset:17040
	ds_load_b64 v[52:53], v67
	ds_load_b64 v[50:51], v4
	ds_load_b64 v[46:47], v56
	ds_load_2addr_b64 v[8:11], v10 offset0:14 offset1:104
	ds_load_2addr_b64 v[28:31], v5 offset0:124 offset1:214
	;; [unrolled: 1-line block ×6, first 2 shown]
	v_cmp_gt_u32_e64 s1, 30, v60
	s_delay_alu instid0(VALU_DEP_1)
	s_and_saveexec_b32 s2, s1
	s_cbranch_execz .LBB0_17
; %bb.16:
	ds_load_b64 v[44:45], v67 offset:5760
	ds_load_b64 v[40:41], v67 offset:11760
	;; [unrolled: 1-line block ×3, first 2 shown]
.LBB0_17:
	s_wait_alu 0xfffe
	s_or_b32 exec_lo, exec_lo, s2
	v_and_b32_e32 v71, 0xff, v65
	v_and_b32_e32 v55, 0xffff, v64
	v_add_nc_u32_e32 v69, 0x1c2, v60
	v_add_nc_u32_e32 v61, 0x2d0, v60
	s_delay_alu instid0(VALU_DEP_4) | instskip(NEXT) | instid1(VALU_DEP_4)
	v_mul_lo_u16 v54, 0xcd, v71
	v_mul_u32_u24_e32 v58, 0xcccd, v55
	s_delay_alu instid0(VALU_DEP_4) | instskip(NEXT) | instid1(VALU_DEP_4)
	v_and_b32_e32 v82, 0xffff, v69
	v_and_b32_e32 v85, 0xffff, v61
	s_delay_alu instid0(VALU_DEP_4) | instskip(NEXT) | instid1(VALU_DEP_4)
	v_lshrrev_b16 v98, 11, v54
	v_lshrrev_b32_e32 v99, 19, v58
	s_delay_alu instid0(VALU_DEP_4) | instskip(NEXT) | instid1(VALU_DEP_4)
	v_mul_u32_u24_e32 v82, 0xcccd, v82
	v_mul_u32_u24_e32 v85, 0xcccd, v85
	s_delay_alu instid0(VALU_DEP_4) | instskip(NEXT) | instid1(VALU_DEP_4)
	v_mul_lo_u16 v54, v98, 10
	v_mul_lo_u16 v58, v99, 10
	s_delay_alu instid0(VALU_DEP_4) | instskip(SKIP_1) | instid1(VALU_DEP_4)
	v_lshrrev_b32_e32 v104, 19, v82
	v_mul_u32_u24_e32 v99, 0xf0, v99
	v_sub_nc_u16 v54, v65, v54
	s_delay_alu instid0(VALU_DEP_4) | instskip(NEXT) | instid1(VALU_DEP_2)
	v_sub_nc_u16 v58, v64, v58
	v_and_b32_e32 v100, 0xff, v54
	s_delay_alu instid0(VALU_DEP_2) | instskip(NEXT) | instid1(VALU_DEP_2)
	v_and_b32_e32 v101, 0xffff, v58
	v_lshlrev_b32_e32 v54, 4, v100
	s_delay_alu instid0(VALU_DEP_2)
	v_lshlrev_b32_e32 v58, 4, v101
	s_clause 0x1
	global_load_b128 v[74:77], v54, s[4:5]
	global_load_b128 v[78:81], v58, s[4:5]
	v_and_b32_e32 v72, 0xff, v60
	v_add_nc_u32_e32 v59, 0x10e, v60
	s_wait_loadcnt_dscnt 0x10b
	v_dual_mul_f32 v91, v75, v37 :: v_dual_add_nc_u32 v66, 0x276, v60
	s_wait_dscnt 0xa
	v_dual_mul_f32 v112, v75, v36 :: v_dual_mul_f32 v75, v77, v33
	v_mul_f32_e32 v113, v77, v32
	s_wait_loadcnt 0x0
	v_dual_mul_f32 v115, v79, v38 :: v_dual_add_nc_u32 v58, 0x168, v60
	v_add_nc_u32_e32 v68, 0x21c, v60
	v_mul_lo_u16 v73, 0xcd, v72
	v_mul_f32_e32 v114, v79, v39
	v_fma_f32 v117, v76, v32, -v75
	v_fmac_f32_e32 v115, v78, v39
	v_dual_fmac_f32 v113, v76, v33 :: v_dual_mul_f32 v32, v81, v35
	v_dual_mul_f32 v39, v81, v34 :: v_dual_and_b32 v70, 0xffff, v59
	v_and_b32_e32 v54, 0xffff, v58
	v_and_b32_e32 v83, 0xffff, v68
	;; [unrolled: 1-line block ×3, first 2 shown]
	v_lshrrev_b16 v86, 11, v73
	v_mul_u32_u24_e32 v73, 0xcccd, v70
	v_fmac_f32_e32 v39, v80, v35
	v_mul_u32_u24_e32 v87, 0xcccd, v54
	v_mul_u32_u24_e32 v83, 0xcccd, v83
	;; [unrolled: 1-line block ×3, first 2 shown]
	v_mul_lo_u16 v88, v86, 10
	v_lshrrev_b32_e32 v102, 19, v73
	v_lshrrev_b32_e32 v103, 19, v87
	;; [unrolled: 1-line block ×4, first 2 shown]
	v_sub_nc_u16 v82, v60, v88
	v_mul_lo_u16 v83, v102, 10
	v_mul_lo_u16 v84, v103, 10
	v_lshrrev_b32_e32 v73, 19, v85
	v_mul_lo_u16 v85, v104, 10
	v_and_b32_e32 v95, 0xff, v82
	v_sub_nc_u16 v82, v59, v83
	v_sub_nc_u16 v83, v58, v84
	v_mul_lo_u16 v87, v106, 10
	v_sub_nc_u16 v84, v69, v85
	v_lshlrev_b32_e32 v85, 4, v95
	v_and_b32_e32 v107, 0xffff, v82
	v_and_b32_e32 v108, 0xffff, v83
	v_fma_f32 v116, v74, v36, -v91
	v_mul_lo_u16 v88, v73, 10
	v_sub_nc_u16 v96, v66, v87
	v_fmac_f32_e32 v112, v74, v37
	v_lshlrev_b32_e32 v90, 4, v108
	v_fma_f32 v38, v78, v38, -v114
	v_sub_nc_u16 v97, v61, v88
	v_fma_f32 v114, v80, v34, -v32
	v_lshlrev_b32_e32 v101, 3, v101
	global_load_b128 v[90:93], v90, s[4:5]
	v_and_b32_e32 v109, 0xffff, v84
	global_load_b128 v[82:85], v85, s[4:5]
	v_and_b32_e32 v94, 0xffff, v86
	v_mul_lo_u16 v86, v105, 10
	v_lshlrev_b32_e32 v87, 4, v107
	v_lshlrev_b32_e32 v111, 4, v109
	v_add3_u32 v99, 0, v99, v101
	v_and_b32_e32 v33, 0xffff, v97
	v_sub_nc_u16 v86, v68, v86
	global_load_b128 v[74:77], v111, s[4:5]
	v_lshlrev_b32_e32 v101, 3, v107
	v_and_b32_e32 v110, 0xffff, v86
	global_load_b128 v[86:89], v87, s[4:5]
	v_lshlrev_b32_e32 v36, 4, v110
	global_load_b128 v[34:37], v36, s[4:5]
	v_and_b32_e32 v111, 0xffff, v96
	s_delay_alu instid0(VALU_DEP_1)
	v_lshlrev_b32_e32 v32, 4, v111
	global_load_b128 v[78:81], v32, s[4:5]
	v_and_b32_e32 v32, 0xffff, v98
	v_lshlrev_b32_e32 v98, 3, v100
	v_mul_u32_u24_e32 v100, 0xf0, v102
	v_mul_u32_u24_e32 v102, 0xf0, v103
	;; [unrolled: 1-line block ×5, first 2 shown]
	v_lshlrev_b32_e32 v106, 3, v108
	v_add3_u32 v100, 0, v100, v101
	v_lshlrev_b32_e32 v96, 4, v33
	s_delay_alu instid0(VALU_DEP_3) | instskip(SKIP_3) | instid1(VALU_DEP_2)
	v_add3_u32 v101, 0, v102, v106
	s_wait_loadcnt 0x4
	v_mul_f32_e32 v106, v85, v15
	v_mul_f32_e32 v85, v85, v14
	v_fma_f32 v14, v84, v14, -v106
	s_delay_alu instid0(VALU_DEP_2) | instskip(SKIP_3) | instid1(VALU_DEP_1)
	v_fmac_f32_e32 v85, v84, v15
	v_mul_u32_u24_e32 v94, 0xf0, v94
	s_wait_loadcnt_dscnt 0x203
	v_dual_mul_f32 v84, v24, v89 :: v_dual_lshlrev_b32 v95, 3, v95
	v_fmac_f32_e32 v84, v25, v88
	s_delay_alu instid0(VALU_DEP_2)
	v_add3_u32 v118, 0, v94, v95
	global_load_b128 v[94:97], v96, s[4:5]
	v_lshlrev_b32_e32 v107, 3, v109
	v_dual_mul_f32 v15, v31, v91 :: v_dual_lshlrev_b32 v108, 3, v110
	global_wb scope:SCOPE_SE
	s_wait_loadcnt_dscnt 0x0
	s_barrier_signal -1
	v_add3_u32 v102, 0, v103, v107
	s_barrier_wait -1
	v_add3_u32 v103, 0, v104, v108
	v_mul_f32_e32 v104, v83, v3
	v_mul_f32_e32 v83, v83, v2
	global_inv scope:SCOPE_SE
	v_fma_f32 v104, v82, v2, -v104
	v_dual_fmac_f32 v83, v82, v3 :: v_dual_mul_f32 v2, v87, v29
	v_dual_mul_f32 v82, v87, v28 :: v_dual_mul_f32 v3, v25, v89
	v_mul_f32_e32 v87, v30, v91
	v_fma_f32 v25, v30, v90, -v15
	s_delay_alu instid0(VALU_DEP_4) | instskip(NEXT) | instid1(VALU_DEP_4)
	v_fma_f32 v28, v86, v28, -v2
	v_fmac_f32_e32 v82, v86, v29
	v_fma_f32 v29, v24, v88, -v3
	v_mul_f32_e32 v2, v27, v93
	v_dual_mul_f32 v86, v26, v93 :: v_dual_mul_f32 v3, v21, v75
	v_dual_mul_f32 v24, v20, v75 :: v_dual_mul_f32 v15, v17, v77
	v_fmac_f32_e32 v87, v31, v90
	v_dual_mul_f32 v31, v16, v77 :: v_dual_mul_f32 v30, v23, v35
	v_mul_f32_e32 v35, v22, v35
	v_fma_f32 v75, v26, v92, -v2
	v_dual_fmac_f32 v86, v27, v92 :: v_dual_mul_f32 v27, v13, v79
	v_dual_mul_f32 v26, v19, v37 :: v_dual_mul_f32 v77, v12, v79
	v_fma_f32 v20, v20, v74, -v3
	v_fmac_f32_e32 v24, v21, v74
	v_fma_f32 v74, v16, v76, -v15
	v_mul_f32_e32 v37, v18, v37
	v_dual_mul_f32 v79, v43, v81 :: v_dual_add_f32 v16, v104, v14
	v_mul_f32_e32 v81, v42, v81
	v_fma_f32 v21, v22, v34, -v30
	v_fmac_f32_e32 v35, v23, v34
	v_fma_f32 v34, v18, v36, -v26
	v_fma_f32 v22, v12, v78, -v27
	v_dual_add_f32 v18, v83, v85 :: v_dual_fmac_f32 v77, v13, v78
	v_dual_fmac_f32 v31, v17, v76 :: v_dual_sub_f32 v30, v112, v113
	v_dual_fmac_f32 v37, v19, v36 :: v_dual_sub_f32 v26, v104, v14
	v_fmac_f32_e32 v81, v43, v80
	v_dual_add_f32 v43, v46, v38 :: v_dual_add_f32 v76, v47, v115
	v_fma_f32 v36, v42, v80, -v79
	v_sub_f32_e32 v23, v83, v85
	v_add_f32_e32 v27, v116, v117
	v_sub_f32_e32 v42, v116, v117
	v_mul_u32_u24_e32 v32, 0xf0, v32
	v_dual_add_f32 v79, v11, v87 :: v_dual_sub_f32 v108, v22, v36
	v_add_f32_e32 v78, v115, v39
	v_add_f32_e32 v80, v87, v86
	s_delay_alu instid0(VALU_DEP_4)
	v_add3_u32 v98, 0, v32, v98
	v_mul_i32_i24_e32 v32, 0xffffffb8, v65
	v_add_f32_e32 v92, v21, v34
	v_fmac_f32_e32 v47, -0.5, v78
	v_sub_f32_e32 v78, v87, v86
	v_sub_f32_e32 v90, v20, v74
	v_mul_f32_e32 v88, v41, v95
	v_dual_mul_f32 v15, v49, v97 :: v_dual_mul_f32 v2, v40, v95
	v_mul_f32_e32 v3, v48, v97
	v_lshlrev_b32_e32 v109, 3, v111
	s_delay_alu instid0(VALU_DEP_4)
	v_fma_f32 v13, v40, v94, -v88
	v_add_f32_e32 v40, v51, v112
	v_fmac_f32_e32 v2, v41, v94
	v_fma_f32 v12, v48, v96, -v15
	v_dual_add_f32 v48, v38, v114 :: v_dual_fmac_f32 v3, v49, v96
	v_add_f32_e32 v41, v112, v113
	v_sub_f32_e32 v49, v115, v39
	v_add3_u32 v105, 0, v105, v109
	s_delay_alu instid0(VALU_DEP_4)
	v_fma_f32 v46, -0.5, v48, v46
	v_dual_sub_f32 v48, v28, v29 :: v_dual_add_f32 v19, v50, v116
	v_add_f32_e32 v15, v52, v104
	v_fma_f32 v52, -0.5, v16, v52
	v_sub_f32_e32 v38, v38, v114
	v_fma_f32 v50, -0.5, v27, v50
	v_dual_add_f32 v16, v19, v117 :: v_dual_add_f32 v17, v53, v83
	v_dual_add_f32 v14, v15, v14 :: v_dual_add_f32 v19, v76, v39
	v_dual_sub_f32 v96, v21, v34 :: v_dual_add_f32 v39, v28, v29
	s_delay_alu instid0(VALU_DEP_3)
	v_dual_add_f32 v104, v22, v36 :: v_dual_add_f32 v15, v17, v85
	v_fmac_f32_e32 v53, -0.5, v18
	v_dual_add_f32 v17, v40, v113 :: v_dual_add_f32 v88, v5, v24
	v_dual_fmac_f32 v51, -0.5, v41 :: v_dual_add_f32 v18, v43, v114
	v_dual_add_f32 v40, v9, v82 :: v_dual_add_f32 v27, v8, v28
	v_sub_f32_e32 v106, v77, v81
	v_add_f32_e32 v28, v10, v25
	v_dual_add_f32 v76, v25, v75 :: v_dual_sub_f32 v43, v82, v84
	v_add_f32_e32 v41, v82, v84
	v_dual_add_f32 v83, v4, v20 :: v_dual_sub_f32 v110, v2, v3
	v_dual_add_f32 v85, v20, v74 :: v_dual_sub_f32 v112, v13, v12
	v_dual_add_f32 v109, v13, v12 :: v_dual_fmamk_f32 v20, v23, 0x3f5db3d7, v52
	v_fma_f32 v8, -0.5, v39, v8
	v_add_f32_e32 v111, v2, v3
	v_sub_f32_e32 v82, v25, v75
	v_sub_f32_e32 v87, v24, v31
	v_add_f32_e32 v89, v24, v31
	v_dual_add_f32 v91, v6, v21 :: v_dual_fmamk_f32 v24, v49, 0x3f5db3d7, v46
	v_dual_sub_f32 v93, v35, v37 :: v_dual_add_f32 v28, v28, v75
	v_dual_add_f32 v94, v7, v35 :: v_dual_add_f32 v97, v0, v22
	v_fmac_f32_e32 v46, 0xbf5db3d7, v49
	v_add_f32_e32 v95, v35, v37
	v_add_f32_e32 v107, v1, v77
	v_dual_add_f32 v77, v77, v81 :: v_dual_add_f32 v34, v91, v34
	v_dual_fmac_f32 v52, 0xbf5db3d7, v23 :: v_dual_fmamk_f32 v21, v26, 0xbf5db3d7, v53
	v_fmamk_f32 v22, v30, 0x3f5db3d7, v50
	v_fma_f32 v9, -0.5, v41, v9
	v_fma_f32 v10, -0.5, v76, v10
	v_dual_fmac_f32 v53, 0x3f5db3d7, v26 :: v_dual_add_f32 v26, v27, v29
	v_fma_f32 v4, -0.5, v85, v4
	v_fmamk_f32 v25, v38, 0xbf5db3d7, v47
	v_fma_f32 v6, -0.5, v92, v6
	v_fmac_f32_e32 v47, 0x3f5db3d7, v38
	v_add_f32_e32 v27, v40, v84
	v_fma_f32 v40, -0.5, v109, v44
	v_fmamk_f32 v38, v43, 0x3f5db3d7, v8
	v_fma_f32 v41, -0.5, v111, v45
	v_dual_fmac_f32 v50, 0xbf5db3d7, v30 :: v_dual_fmamk_f32 v23, v42, 0xbf5db3d7, v51
	v_fmac_f32_e32 v51, 0x3f5db3d7, v42
	v_dual_add_f32 v31, v88, v31 :: v_dual_fmamk_f32 v42, v110, 0x3f5db3d7, v40
	v_fma_f32 v5, -0.5, v89, v5
	v_dual_add_f32 v35, v94, v37 :: v_dual_fmac_f32 v40, 0xbf5db3d7, v110
	v_dual_add_f32 v36, v97, v36 :: v_dual_fmac_f32 v7, -0.5, v95
	v_fma_f32 v0, -0.5, v104, v0
	v_fmac_f32_e32 v11, -0.5, v80
	v_dual_fmac_f32 v1, -0.5, v77 :: v_dual_fmac_f32 v8, 0xbf5db3d7, v43
	v_fmamk_f32 v43, v112, 0xbf5db3d7, v41
	v_fmac_f32_e32 v41, 0x3f5db3d7, v112
	v_add_f32_e32 v29, v79, v86
	v_add_f32_e32 v30, v83, v74
	;; [unrolled: 1-line block ×3, first 2 shown]
	v_fmamk_f32 v39, v48, 0xbf5db3d7, v9
	v_dual_fmac_f32 v9, 0x3f5db3d7, v48 :: v_dual_fmamk_f32 v48, v78, 0x3f5db3d7, v10
	v_fmac_f32_e32 v10, 0xbf5db3d7, v78
	v_fmamk_f32 v78, v106, 0x3f5db3d7, v0
	v_fmamk_f32 v74, v87, 0x3f5db3d7, v4
	v_dual_fmac_f32 v4, 0xbf5db3d7, v87 :: v_dual_fmamk_f32 v75, v90, 0xbf5db3d7, v5
	v_dual_fmac_f32 v5, 0x3f5db3d7, v90 :: v_dual_fmamk_f32 v76, v93, 0x3f5db3d7, v6
	;; [unrolled: 1-line block ×3, first 2 shown]
	v_fmac_f32_e32 v7, 0x3f5db3d7, v96
	v_dual_fmac_f32 v0, 0xbf5db3d7, v106 :: v_dual_fmamk_f32 v49, v82, 0xbf5db3d7, v11
	v_fmac_f32_e32 v11, 0x3f5db3d7, v82
	v_fmamk_f32 v79, v108, 0xbf5db3d7, v1
	v_fmac_f32_e32 v1, 0x3f5db3d7, v108
	ds_store_2addr_b64 v118, v[14:15], v[20:21] offset1:10
	ds_store_b64 v118, v[52:53] offset:160
	ds_store_2addr_b64 v98, v[16:17], v[22:23] offset1:10
	ds_store_b64 v98, v[50:51] offset:160
	;; [unrolled: 2-line block ×8, first 2 shown]
	s_and_saveexec_b32 s2, s1
	s_cbranch_execz .LBB0_19
; %bb.18:
	v_mul_lo_u16 v0, v73, 30
	v_dual_add_f32 v1, v45, v2 :: v_dual_lshlrev_b32 v4, 3, v33
	s_delay_alu instid0(VALU_DEP_2) | instskip(NEXT) | instid1(VALU_DEP_2)
	v_and_b32_e32 v0, 0xffff, v0
	v_dual_add_f32 v2, v44, v13 :: v_dual_add_f32 v1, v1, v3
	s_delay_alu instid0(VALU_DEP_2) | instskip(NEXT) | instid1(VALU_DEP_2)
	v_lshlrev_b32_e32 v5, 3, v0
	v_add_f32_e32 v0, v2, v12
	s_delay_alu instid0(VALU_DEP_2)
	v_add3_u32 v2, 0, v4, v5
	ds_store_2addr_b64 v2, v[0:1], v[42:43] offset1:10
	ds_store_b64 v2, v[40:41] offset:160
.LBB0_19:
	s_wait_alu 0xfffe
	s_or_b32 exec_lo, exec_lo, s2
	v_mul_lo_u16 v0, 0x89, v72
	v_mul_lo_u16 v1, 0x89, v71
	global_wb scope:SCOPE_SE
	s_wait_dscnt 0x0
	s_barrier_signal -1
	s_barrier_wait -1
	v_lshrrev_b16 v14, 12, v0
	v_lshrrev_b16 v15, 12, v1
	global_inv scope:SCOPE_SE
	v_mul_u32_u24_e32 v16, 0x8889, v70
	v_mul_lo_u16 v0, v14, 30
	v_and_b32_e32 v14, 0xffff, v14
	s_delay_alu instid0(VALU_DEP_3) | instskip(NEXT) | instid1(VALU_DEP_3)
	v_lshrrev_b32_e32 v25, 20, v16
	v_sub_nc_u16 v0, v60, v0
	s_delay_alu instid0(VALU_DEP_3) | instskip(NEXT) | instid1(VALU_DEP_2)
	v_mul_u32_u24_e32 v14, 0x4b0, v14
	v_and_b32_e32 v20, 0xff, v0
	v_mul_lo_u16 v0, v15, 30
	v_and_b32_e32 v15, 0xffff, v15
	s_delay_alu instid0(VALU_DEP_3) | instskip(NEXT) | instid1(VALU_DEP_3)
	v_lshlrev_b32_e32 v4, 5, v20
	v_sub_nc_u16 v5, v65, v0
	s_delay_alu instid0(VALU_DEP_3)
	v_mul_u32_u24_e32 v15, 0x4b0, v15
	s_clause 0x1
	global_load_b128 v[0:3], v4, s[4:5] offset:160
	global_load_b128 v[6:9], v4, s[4:5] offset:176
	v_and_b32_e32 v17, 0xff, v5
	v_mul_u32_u24_e32 v5, 0x8889, v55
	v_add_nc_u32_e32 v70, 0xc00, v67
	v_add_nc_u32_e32 v23, 0x1800, v67
	;; [unrolled: 1-line block ×3, first 2 shown]
	v_lshlrev_b32_e32 v4, 5, v17
	v_lshrrev_b32_e32 v21, 20, v5
	s_clause 0x1
	global_load_b128 v[10:13], v4, s[4:5] offset:160
	global_load_b128 v[33:36], v4, s[4:5] offset:176
	v_mul_lo_u16 v5, v21, 30
	v_mul_lo_u16 v4, v25, 30
	v_add_nc_u32_e32 v18, 0x3800, v67
	s_delay_alu instid0(VALU_DEP_3) | instskip(NEXT) | instid1(VALU_DEP_3)
	v_sub_nc_u16 v5, v64, v5
	v_sub_nc_u16 v4, v59, v4
	s_delay_alu instid0(VALU_DEP_2) | instskip(SKIP_1) | instid1(VALU_DEP_3)
	v_and_b32_e32 v27, 0xffff, v5
	v_mul_u32_u24_e32 v5, 0x8889, v54
	v_and_b32_e32 v30, 0xffff, v4
	s_delay_alu instid0(VALU_DEP_3) | instskip(NEXT) | instid1(VALU_DEP_3)
	v_lshlrev_b32_e32 v16, 5, v27
	v_lshrrev_b32_e32 v28, 20, v5
	s_delay_alu instid0(VALU_DEP_3)
	v_lshlrev_b32_e32 v5, 5, v30
	s_clause 0x1
	global_load_b128 v[85:88], v16, s[4:5] offset:160
	global_load_b128 v[89:92], v16, s[4:5] offset:176
	v_mul_lo_u16 v4, v28, 30
	s_clause 0x1
	global_load_b128 v[93:96], v5, s[4:5] offset:160
	global_load_b128 v[97:100], v5, s[4:5] offset:176
	v_add_nc_u32_e32 v16, 0x3400, v67
	v_sub_nc_u16 v4, v58, v4
	s_delay_alu instid0(VALU_DEP_1) | instskip(NEXT) | instid1(VALU_DEP_1)
	v_and_b32_e32 v29, 0xffff, v4
	v_lshlrev_b32_e32 v4, 5, v29
	s_clause 0x1
	global_load_b128 v[101:104], v4, s[4:5] offset:160
	global_load_b128 v[105:108], v4, s[4:5] offset:176
	ds_load_2addr_b64 v[45:48], v70 offset0:66 offset1:156
	ds_load_2addr_b64 v[109:112], v23 offset0:42 offset1:132
	;; [unrolled: 1-line block ×3, first 2 shown]
	ds_load_b64 v[4:5], v67
	ds_load_2addr_b64 v[113:116], v16 offset0:46 offset1:136
	v_add_nc_u32_e32 v57, v57, v32
	v_add_nc_u32_e32 v26, 0x1000, v67
	;; [unrolled: 1-line block ×4, first 2 shown]
	s_wait_loadcnt_dscnt 0x903
	v_dual_mul_f32 v76, v1, v45 :: v_dual_mul_f32 v73, v3, v111
	s_wait_loadcnt_dscnt 0x800
	v_dual_mul_f32 v44, v50, v7 :: v_dual_mul_f32 v39, v115, v9
	s_delay_alu instid0(VALU_DEP_2) | instskip(NEXT) | instid1(VALU_DEP_2)
	v_dual_fmac_f32 v76, v0, v46 :: v_dual_lshlrev_b32 v17, 3, v17
	v_dual_fmac_f32 v73, v2, v112 :: v_dual_fmac_f32 v44, v51, v6
	s_wait_loadcnt 0x7
	s_delay_alu instid0(VALU_DEP_3) | instskip(NEXT) | instid1(VALU_DEP_1)
	v_dual_fmac_f32 v39, v116, v8 :: v_dual_mul_f32 v80, v47, v11
	v_dual_fmac_f32 v80, v48, v10 :: v_dual_add_nc_u32 v19, 0x1c00, v67
	ds_load_2addr_b64 v[117:120], v19 offset0:94 offset1:184
	ds_load_2addr_b64 v[121:124], v18 offset0:98 offset1:188
	;; [unrolled: 1-line block ×5, first 2 shown]
	v_mul_f32_e32 v31, v1, v46
	v_mul_f32_e32 v1, v3, v112
	v_add_nc_u32_e32 v37, 0x4000, v67
	v_mul_f32_e32 v3, v51, v7
	v_mul_f32_e32 v7, v116, v9
	v_fma_f32 v79, v0, v45, -v31
	v_fma_f32 v74, v2, v111, -v1
	v_mul_f32_e32 v0, v48, v11
	v_fma_f32 v54, v50, v6, -v3
	v_fma_f32 v45, v115, v8, -v7
	ds_load_b64 v[6:7], v56
	ds_load_b64 v[8:9], v57
	s_wait_loadcnt 0x6
	v_mul_f32_e32 v51, v52, v34
	v_fma_f32 v81, v47, v10, -v0
	v_mul_f32_e32 v0, v53, v34
	s_wait_dscnt 0x6
	v_dual_mul_f32 v1, v118, v13 :: v_dual_lshlrev_b32 v20, 3, v20
	s_wait_dscnt 0x5
	v_mul_f32_e32 v46, v121, v36
	v_dual_mul_f32 v77, v117, v13 :: v_dual_add_nc_u32 v22, 0x800, v67
	v_mul_f32_e32 v31, v122, v36
	v_fma_f32 v78, v117, v12, -v1
	s_wait_loadcnt 0x5
	v_dual_fmac_f32 v51, v53, v33 :: v_dual_mul_f32 v32, v120, v88
	v_fmac_f32_e32 v77, v118, v12
	ds_load_2addr_b64 v[10:13], v37 offset0:22 offset1:112
	v_dual_fmac_f32 v46, v122, v35 :: v_dual_mul_f32 v83, v119, v88
	v_fma_f32 v52, v52, v33, -v0
	v_fma_f32 v49, v121, v35, -v31
	s_wait_loadcnt_dscnt 0x303
	v_dual_mul_f32 v31, v126, v86 :: v_dual_mul_f32 v82, v133, v96
	v_dual_mul_f32 v86, v125, v86 :: v_dual_mul_f32 v33, v124, v92
	v_fma_f32 v84, v119, v87, -v32
	v_dual_fmac_f32 v83, v120, v87 :: v_dual_mul_f32 v32, v130, v90
	v_dual_mul_f32 v47, v123, v92 :: v_dual_mul_f32 v34, v128, v94
	s_delay_alu instid0(VALU_DEP_4)
	v_dual_mul_f32 v55, v129, v90 :: v_dual_fmac_f32 v86, v126, v85
	ds_load_2addr_b64 v[0:3], v22 offset0:14 offset1:104
	v_fma_f32 v92, v125, v85, -v31
	v_mul_f32_e32 v85, v127, v94
	s_wait_loadcnt 0x2
	v_dual_mul_f32 v35, v134, v96 :: v_dual_mul_f32 v36, v132, v98
	s_wait_loadcnt 0x1
	v_dual_fmac_f32 v47, v124, v91 :: v_dual_mul_f32 v38, v110, v102
	s_wait_loadcnt_dscnt 0x1
	v_dual_mul_f32 v37, v11, v100 :: v_dual_mul_f32 v88, v114, v106
	v_mul_f32_e32 v50, v10, v100
	v_fma_f32 v72, v129, v89, -v32
	v_dual_fmac_f32 v55, v130, v89 :: v_dual_mul_f32 v32, v135, v104
	v_dual_mul_f32 v31, v109, v102 :: v_dual_fmac_f32 v82, v134, v95
	s_delay_alu instid0(VALU_DEP_4)
	v_dual_mul_f32 v87, v136, v104 :: v_dual_fmac_f32 v50, v11, v99
	v_dual_mul_f32 v89, v13, v108 :: v_dual_add_f32 v94, v4, v79
	v_fma_f32 v48, v123, v91, -v33
	v_mul_f32_e32 v71, v131, v98
	v_fma_f32 v91, v127, v93, -v34
	v_mul_f32_e32 v34, v12, v108
	v_fmac_f32_e32 v85, v128, v93
	v_dual_mul_f32 v33, v113, v106 :: v_dual_fmac_f32 v32, v136, v103
	v_fma_f32 v93, v133, v95, -v35
	v_fma_f32 v75, v131, v97, -v36
	v_fma_f32 v53, v10, v99, -v37
	v_fma_f32 v37, v109, v101, -v38
	v_fmac_f32_e32 v31, v110, v101
	v_fma_f32 v35, v135, v103, -v87
	v_fma_f32 v36, v113, v105, -v88
	;; [unrolled: 1-line block ×3, first 2 shown]
	v_sub_f32_e32 v12, v45, v54
	v_dual_sub_f32 v11, v79, v74 :: v_dual_sub_f32 v88, v54, v45
	v_dual_sub_f32 v87, v74, v79 :: v_dual_sub_f32 v90, v76, v73
	v_dual_sub_f32 v99, v44, v39 :: v_dual_add_f32 v104, v81, v49
	v_dual_add_f32 v101, v78, v52 :: v_dual_add_f32 v108, v77, v51
	v_dual_fmac_f32 v71, v132, v97 :: v_dual_add_f32 v10, v74, v54
	v_dual_fmac_f32 v33, v114, v105 :: v_dual_sub_f32 v96, v39, v44
	v_dual_fmac_f32 v34, v13, v107 :: v_dual_add_f32 v13, v79, v45
	v_sub_f32_e32 v98, v73, v76
	v_dual_add_f32 v95, v5, v76 :: v_dual_add_f32 v100, v8, v81
	v_dual_add_f32 v89, v73, v44 :: v_dual_sub_f32 v106, v52, v49
	v_dual_add_f32 v97, v76, v39 :: v_dual_sub_f32 v102, v81, v78
	v_dual_sub_f32 v103, v49, v52 :: v_dual_sub_f32 v110, v46, v51
	v_dual_sub_f32 v105, v78, v81 :: v_dual_sub_f32 v112, v77, v80
	v_dual_add_f32 v107, v9, v80 :: v_dual_add_f32 v122, v83, v55
	v_dual_sub_f32 v109, v80, v77 :: v_dual_add_f32 v114, v6, v92
	v_dual_add_f32 v111, v80, v46 :: v_dual_sub_f32 v124, v86, v83
	v_dual_sub_f32 v113, v51, v46 :: v_dual_sub_f32 v116, v92, v84
	v_dual_add_f32 v115, v84, v72 :: v_dual_sub_f32 v126, v47, v55
	v_sub_f32_e32 v117, v48, v72
	v_dual_add_f32 v118, v92, v48 :: v_dual_add_f32 v121, v7, v86
	v_dual_sub_f32 v119, v84, v92 :: v_dual_add_f32 v98, v98, v99
	v_sub_f32_e32 v120, v72, v48
	v_dual_add_f32 v123, v11, v12 :: v_dual_add_f32 v102, v102, v103
	v_add_f32_e32 v125, v87, v88
	v_fma_f32 v12, -0.5, v101, v8
	v_fma_f32 v8, -0.5, v104, v8
	v_dual_sub_f32 v104, v53, v75 :: v_dual_sub_f32 v101, v91, v93
	v_fma_f32 v10, -0.5, v10, v4
	v_fma_f32 v4, -0.5, v13, v4
	;; [unrolled: 1-line block ×3, first 2 shown]
	v_add_f32_e32 v89, v86, v47
	v_dual_add_f32 v96, v90, v96 :: v_dual_fmac_f32 v5, -0.5, v97
	v_sub_f32_e32 v90, v83, v86
	v_sub_f32_e32 v97, v55, v47
	v_add_f32_e32 v99, v93, v75
	v_add_f32_e32 v103, v105, v106
	v_fma_f32 v13, -0.5, v108, v9
	v_sub_f32_e32 v105, v93, v91
	v_add_f32_e32 v106, v109, v110
	v_dual_sub_f32 v108, v75, v53 :: v_dual_fmac_f32 v9, -0.5, v111
	v_dual_add_f32 v109, v82, v71 :: v_dual_add_f32 v110, v112, v113
	v_add_f32_e32 v112, v116, v117
	v_fma_f32 v87, -0.5, v115, v6
	v_fma_f32 v6, -0.5, v118, v6
	v_add_f32_e32 v115, v119, v120
	v_add_f32_e32 v116, v91, v53
	v_fma_f32 v88, -0.5, v122, v7
	v_sub_f32_e32 v122, v74, v54
	v_add_f32_e32 v117, v85, v50
	v_add_f32_e32 v118, v124, v126
	v_dual_sub_f32 v124, v79, v45 :: v_dual_add_f32 v101, v101, v104
	v_add_f32_e32 v74, v94, v74
	v_dual_sub_f32 v111, v85, v82 :: v_dual_sub_f32 v76, v76, v39
	v_dual_sub_f32 v113, v50, v71 :: v_dual_sub_f32 v104, v73, v44
	;; [unrolled: 1-line block ×3, first 2 shown]
	v_dual_sub_f32 v120, v71, v50 :: v_dual_fmac_f32 v7, -0.5, v89
	v_dual_add_f32 v97, v90, v97 :: v_dual_sub_f32 v92, v92, v48
	v_add_f32_e32 v105, v105, v108
	s_wait_dscnt 0x0
	v_fma_f32 v79, -0.5, v99, v0
	v_fma_f32 v80, -0.5, v109, v1
	v_dual_sub_f32 v99, v77, v51 :: v_dual_sub_f32 v94, v84, v72
	v_sub_f32_e32 v108, v81, v49
	v_fma_f32 v89, -0.5, v116, v0
	v_fma_f32 v90, -0.5, v117, v1
	v_sub_f32_e32 v117, v83, v55
	v_add_f32_e32 v1, v1, v85
	v_dual_add_f32 v73, v95, v73 :: v_dual_add_f32 v74, v74, v54
	v_dual_add_f32 v77, v107, v77 :: v_dual_add_f32 v0, v0, v91
	v_add_f32_e32 v81, v121, v83
	v_add_f32_e32 v83, v114, v84
	;; [unrolled: 1-line block ×4, first 2 shown]
	v_dual_sub_f32 v111, v78, v52 :: v_dual_add_f32 v78, v100, v78
	v_dual_sub_f32 v113, v86, v47 :: v_dual_add_f32 v116, v119, v120
	v_dual_sub_f32 v95, v85, v50 :: v_dual_sub_f32 v100, v82, v71
	v_sub_f32_e32 v107, v91, v53
	v_dual_add_f32 v1, v1, v82 :: v_dual_add_f32 v82, v35, v36
	v_add_f32_e32 v85, v0, v93
	v_dual_add_f32 v91, v84, v35 :: v_dual_add_f32 v84, v73, v44
	v_add_f32_e32 v86, v77, v51
	v_dual_fmamk_f32 v0, v76, 0x3f737871, v10 :: v_dual_sub_f32 v119, v93, v75
	v_dual_add_f32 v120, v83, v72 :: v_dual_add_f32 v93, v37, v38
	v_fmamk_f32 v51, v104, 0xbf737871, v4
	v_fmac_f32_e32 v4, 0x3f737871, v104
	v_sub_f32_e32 v114, v31, v34
	v_fma_f32 v44, -0.5, v82, v2
	v_dual_add_f32 v82, v78, v52 :: v_dual_add_f32 v121, v81, v55
	v_fmamk_f32 v54, v126, 0x3f737871, v12
	v_fmac_f32_e32 v10, 0xbf737871, v76
	v_add_f32_e32 v128, v1, v71
	v_dual_add_f32 v127, v85, v75 :: v_dual_fmac_f32 v12, 0xbf737871, v126
	v_fmamk_f32 v52, v122, 0x3f737871, v5
	v_fmac_f32_e32 v5, 0xbf737871, v122
	v_dual_fmac_f32 v0, 0x3f167918, v104 :: v_dual_add_f32 v73, v74, v45
	v_dual_fmac_f32 v4, 0xbf167918, v76 :: v_dual_add_f32 v83, v82, v49
	v_dual_fmamk_f32 v72, v111, 0x3f737871, v9 :: v_dual_add_f32 v49, v121, v47
	v_fmac_f32_e32 v9, 0xbf737871, v111
	v_dual_add_f32 v74, v84, v39 :: v_dual_fmamk_f32 v75, v113, 0x3f737871, v87
	v_dual_fmamk_f32 v78, v94, 0x3f737871, v7 :: v_dual_add_f32 v39, v91, v36
	v_fmac_f32_e32 v7, 0xbf737871, v94
	v_dual_add_f32 v84, v86, v46 :: v_dual_fmac_f32 v51, 0x3f167918, v76
	v_fmac_f32_e32 v54, 0x3f167918, v99
	v_fmamk_f32 v76, v92, 0xbf737871, v88
	v_fmac_f32_e32 v88, 0x3f737871, v92
	v_dual_fmamk_f32 v1, v124, 0xbf737871, v11 :: v_dual_fmamk_f32 v82, v107, 0xbf737871, v80
	v_fmac_f32_e32 v11, 0x3f737871, v124
	v_fmamk_f32 v55, v108, 0xbf737871, v13
	v_fmac_f32_e32 v13, 0x3f737871, v108
	v_fmac_f32_e32 v87, 0xbf737871, v113
	v_dual_fmac_f32 v5, 0x3f167918, v124 :: v_dual_fmac_f32 v88, 0x3f167918, v94
	v_fmamk_f32 v77, v117, 0xbf737871, v6
	v_dual_fmamk_f32 v81, v95, 0x3f737871, v79 :: v_dual_fmac_f32 v80, 0x3f737871, v107
	v_fmac_f32_e32 v79, 0xbf737871, v95
	v_dual_fmamk_f32 v46, v114, 0x3f737871, v44 :: v_dual_sub_f32 v47, v32, v33
	v_dual_fmac_f32 v76, 0xbf167918, v94 :: v_dual_sub_f32 v45, v37, v35
	v_fmac_f32_e32 v78, 0xbf167918, v92
	v_fmac_f32_e32 v44, 0xbf737871, v114
	v_dual_add_f32 v94, v3, v31 :: v_dual_fmac_f32 v7, 0x3f167918, v92
	v_add_f32_e32 v92, v128, v50
	v_dual_sub_f32 v50, v38, v36 :: v_dual_fmamk_f32 v71, v99, 0xbf737871, v8
	v_add_f32_e32 v48, v120, v48
	v_fmac_f32_e32 v8, 0x3f737871, v99
	v_dual_fmac_f32 v11, 0x3f167918, v122 :: v_dual_fmac_f32 v80, 0x3f167918, v119
	v_fmac_f32_e32 v6, 0x3f737871, v117
	v_fmamk_f32 v86, v119, 0x3f737871, v90
	v_fmac_f32_e32 v13, 0x3f167918, v111
	v_fmac_f32_e32 v82, 0xbf167918, v119
	v_fma_f32 v2, -0.5, v93, v2
	v_add_f32_e32 v93, v39, v38
	v_add_f32_e32 v39, v45, v50
	v_dual_sub_f32 v45, v35, v37 :: v_dual_fmac_f32 v44, 0xbf167918, v47
	v_sub_f32_e32 v50, v36, v38
	v_fmamk_f32 v85, v100, 0xbf737871, v89
	v_fmac_f32_e32 v89, 0x3f737871, v100
	v_dual_fmac_f32 v72, 0xbf167918, v108 :: v_dual_add_f32 v91, v127, v53
	v_fmac_f32_e32 v75, 0x3f167918, v117
	v_dual_fmac_f32 v86, 0xbf167918, v107 :: v_dual_add_f32 v53, v32, v33
	v_dual_fmac_f32 v80, 0x3e9e377a, v109 :: v_dual_sub_f32 v37, v37, v38
	v_add_f32_e32 v38, v94, v32
	v_dual_fmac_f32 v9, 0x3f167918, v108 :: v_dual_fmac_f32 v46, 0x3f167918, v47
	v_fmac_f32_e32 v77, 0x3f167918, v113
	v_dual_fmac_f32 v6, 0xbf167918, v113 :: v_dual_fmac_f32 v89, 0xbf167918, v95
	v_add_f32_e32 v50, v45, v50
	v_fma_f32 v45, -0.5, v53, v3
	v_sub_f32_e32 v35, v35, v36
	v_sub_f32_e32 v36, v31, v32
	v_dual_add_f32 v53, v31, v34 :: v_dual_add_f32 v38, v38, v33
	v_fmac_f32_e32 v85, 0x3f167918, v95
	v_fmamk_f32 v95, v47, 0xbf737871, v2
	v_fmac_f32_e32 v2, 0x3f737871, v47
	v_dual_sub_f32 v31, v32, v31 :: v_dual_fmac_f32 v10, 0xbf167918, v104
	v_fmac_f32_e32 v1, 0xbf167918, v122
	v_dual_fmac_f32 v89, 0x3e9e377a, v105 :: v_dual_fmac_f32 v46, 0x3e9e377a, v39
	s_delay_alu instid0(VALU_DEP_4)
	v_dual_fmac_f32 v2, 0xbf167918, v114 :: v_dual_fmac_f32 v3, -0.5, v53
	v_sub_f32_e32 v32, v33, v34
	v_fmac_f32_e32 v95, 0x3f167918, v114
	v_dual_fmac_f32 v44, 0x3e9e377a, v39 :: v_dual_sub_f32 v39, v34, v33
	v_fmac_f32_e32 v90, 0xbf737871, v119
	v_dual_fmac_f32 v52, 0xbf167918, v124 :: v_dual_fmac_f32 v55, 0xbf167918, v111
	v_dual_fmac_f32 v0, 0x3e9e377a, v123 :: v_dual_fmac_f32 v51, 0x3e9e377a, v125
	;; [unrolled: 1-line block ×4, first 2 shown]
	v_fmac_f32_e32 v2, 0x3e9e377a, v50
	v_fmamk_f32 v96, v35, 0x3f737871, v3
	v_add3_u32 v14, 0, v14, v20
	v_dual_fmac_f32 v71, 0x3f167918, v126 :: v_dual_fmac_f32 v90, 0x3f167918, v107
	v_dual_fmac_f32 v8, 0xbf167918, v126 :: v_dual_fmac_f32 v79, 0xbf167918, v100
	s_delay_alu instid0(VALU_DEP_2) | instskip(NEXT) | instid1(VALU_DEP_2)
	v_dual_fmac_f32 v52, 0x3e9e377a, v98 :: v_dual_fmac_f32 v71, 0x3e9e377a, v103
	v_dual_fmac_f32 v5, 0x3e9e377a, v98 :: v_dual_fmac_f32 v8, 0x3e9e377a, v103
	;; [unrolled: 1-line block ×5, first 2 shown]
	v_fmamk_f32 v47, v37, 0xbf737871, v45
	global_wb scope:SCOPE_SE
	s_barrier_signal -1
	s_barrier_wait -1
	global_inv scope:SCOPE_SE
	ds_store_2addr_b64 v14, v[73:74], v[0:1] offset1:30
	v_add3_u32 v0, 0, v15, v17
	v_dual_fmac_f32 v72, 0x3e9e377a, v110 :: v_dual_fmac_f32 v77, 0x3e9e377a, v115
	v_dual_fmac_f32 v9, 0x3e9e377a, v110 :: v_dual_fmac_f32 v82, 0x3e9e377a, v109
	ds_store_2addr_b64 v14, v[51:52], v[4:5] offset0:60 offset1:90
	ds_store_b64 v14, v[10:11] offset:960
	v_mul_u32_u24_e32 v1, 0x4b0, v21
	v_dual_fmac_f32 v45, 0x3f737871, v37 :: v_dual_lshlrev_b32 v4, 3, v27
	v_fmac_f32_e32 v3, 0xbf737871, v35
	v_dual_fmac_f32 v81, 0x3f167918, v100 :: v_dual_add_f32 v36, v36, v39
	v_dual_fmac_f32 v12, 0x3e9e377a, v102 :: v_dual_fmac_f32 v87, 0x3e9e377a, v112
	v_dual_fmac_f32 v13, 0x3e9e377a, v106 :: v_dual_fmac_f32 v78, 0x3e9e377a, v97
	v_fmac_f32_e32 v47, 0xbf167918, v35
	ds_store_2addr_b64 v0, v[83:84], v[54:55] offset1:30
	ds_store_2addr_b64 v0, v[71:72], v[8:9] offset0:60 offset1:90
	v_lshlrev_b32_e32 v8, 3, v30
	v_mul_u32_u24_e32 v5, 0x4b0, v25
	v_add3_u32 v1, 0, v1, v4
	v_mul_u32_u24_e32 v4, 0x4b0, v28
	v_dual_fmac_f32 v76, 0x3e9e377a, v118 :: v_dual_lshlrev_b32 v9, 3, v29
	v_dual_fmac_f32 v7, 0x3e9e377a, v97 :: v_dual_fmac_f32 v88, 0x3e9e377a, v118
	v_fmac_f32_e32 v81, 0x3e9e377a, v101
	v_fmac_f32_e32 v45, 0x3f167918, v35
	v_dual_fmac_f32 v96, 0xbf167918, v37 :: v_dual_add_f32 v31, v31, v32
	v_fmac_f32_e32 v3, 0x3f167918, v37
	ds_store_b64 v0, v[12:13] offset:960
	v_add3_u32 v0, 0, v5, v8
	v_dual_fmac_f32 v79, 0x3e9e377a, v101 :: v_dual_fmac_f32 v86, 0x3e9e377a, v116
	v_fmac_f32_e32 v90, 0x3e9e377a, v116
	v_dual_add_f32 v94, v38, v34 :: v_dual_fmac_f32 v85, 0x3e9e377a, v105
	v_dual_fmac_f32 v47, 0x3e9e377a, v36 :: v_dual_fmac_f32 v96, 0x3e9e377a, v31
	v_add3_u32 v4, 0, v4, v9
	v_fmac_f32_e32 v95, 0x3e9e377a, v50
	v_fmac_f32_e32 v45, 0x3e9e377a, v36
	v_fmac_f32_e32 v3, 0x3e9e377a, v31
	ds_store_2addr_b64 v1, v[48:49], v[75:76] offset1:30
	ds_store_2addr_b64 v1, v[77:78], v[6:7] offset0:60 offset1:90
	ds_store_b64 v1, v[87:88] offset:960
	ds_store_2addr_b64 v0, v[91:92], v[81:82] offset1:30
	ds_store_2addr_b64 v0, v[85:86], v[89:90] offset0:60 offset1:90
	ds_store_b64 v0, v[79:80] offset:960
	;; [unrolled: 3-line block ×3, first 2 shown]
	v_add_nc_u32_e32 v4, 0x3000, v67
	global_wb scope:SCOPE_SE
	s_wait_dscnt 0x0
	s_barrier_signal -1
	s_barrier_wait -1
	global_inv scope:SCOPE_SE
	ds_load_2addr_b64 v[0:3], v26 offset0:118 offset1:238
	ds_load_2addr_b64 v[12:15], v24 offset0:100 offset1:220
	;; [unrolled: 1-line block ×4, first 2 shown]
	ds_load_b64 v[52:53], v67 offset:17040
	ds_load_b64 v[54:55], v67
	ds_load_b64 v[50:51], v57
	;; [unrolled: 1-line block ×3, first 2 shown]
	v_add_nc_u32_e32 v17, 0x2400, v67
	ds_load_2addr_b64 v[4:7], v22 offset0:14 offset1:104
	ds_load_2addr_b64 v[28:31], v19 offset0:124 offset1:214
	ds_load_2addr_b64 v[24:27], v16 offset0:106 offset1:196
	ds_load_2addr_b64 v[8:11], v70 offset0:66 offset1:156
	ds_load_2addr_b64 v[20:23], v17 offset0:48 offset1:138
	ds_load_2addr_b64 v[16:19], v18 offset0:158 offset1:248
	s_and_saveexec_b32 s2, s1
	s_cbranch_execz .LBB0_21
; %bb.20:
	ds_load_b64 v[44:45], v67 offset:5760
	ds_load_b64 v[42:43], v67 offset:11760
	ds_load_b64 v[40:41], v67 offset:17760
.LBB0_21:
	s_wait_alu 0xfffe
	s_or_b32 exec_lo, exec_lo, s2
	v_subrev_nc_u32_e32 v71, 60, v60
	v_cmp_gt_u32_e64 s2, 60, v60
	v_dual_mov_b32 v47, 0 :: v_dual_lshlrev_b32 v46, 1, v60
	v_lshrrev_b16 v85, 1, v68
	v_lshrrev_b16 v86, 1, v66
	s_wait_alu 0xf1ff
	v_cndmask_b32_e64 v103, v71, v65, s2
	v_lshrrev_b16 v84, 1, v69
	v_lshlrev_b64_e32 v[71:72], 3, v[46:47]
	v_add_nc_u32_e32 v46, 60, v46
	s_delay_alu instid0(VALU_DEP_4) | instskip(SKIP_1) | instid1(VALU_DEP_3)
	v_dual_mov_b32 v74, v47 :: v_dual_lshlrev_b32 v73, 1, v103
	v_lshrrev_b16 v83, 1, v58
	v_lshlrev_b64_e32 v[75:76], 3, v[46:47]
	v_add_co_u32 v71, s2, s4, v71
	s_delay_alu instid0(VALU_DEP_4) | instskip(SKIP_2) | instid1(VALU_DEP_4)
	v_lshlrev_b64_e32 v[77:78], 3, v[73:74]
	s_wait_alu 0xf1ff
	v_add_co_ci_u32_e64 v72, s2, s5, v72, s2
	v_add_co_u32 v75, s2, s4, v75
	s_wait_alu 0xf1ff
	v_add_co_ci_u32_e64 v76, s2, s5, v76, s2
	global_load_b128 v[71:74], v[71:72], off offset:1120
	v_add_co_u32 v79, s2, s4, v77
	s_wait_alu 0xf1ff
	v_add_co_ci_u32_e64 v80, s2, s5, v78, s2
	s_clause 0x1
	global_load_b128 v[75:78], v[75:76], off offset:1120
	global_load_b128 v[79:82], v[79:80], off offset:1120
	v_and_b32_e32 v85, 0xffff, v85
	v_and_b32_e32 v86, 0xffff, v86
	v_lshrrev_b16 v46, 1, v59
	v_lshlrev_b32_e32 v103, 3, v103
	v_and_b32_e32 v84, 0xffff, v84
	v_mul_u32_u24_e32 v85, 0xda75, v85
	v_mul_u32_u24_e32 v86, 0xda75, v86
	v_and_b32_e32 v83, 0xffff, v83
	v_cmp_lt_u32_e64 s2, 59, v60
	s_delay_alu instid0(VALU_DEP_4) | instskip(NEXT) | instid1(VALU_DEP_4)
	v_lshrrev_b32_e32 v104, 22, v85
	v_lshrrev_b32_e32 v85, 22, v86
	s_wait_alu 0xf1ff
	s_delay_alu instid0(VALU_DEP_3) | instskip(NEXT) | instid1(VALU_DEP_3)
	v_cndmask_b32_e64 v107, 0, 0xe10, s2
	v_mul_lo_u16 v86, 0x96, v104
	v_mul_u32_u24_e32 v104, 0xe10, v104
	s_delay_alu instid0(VALU_DEP_2) | instskip(NEXT) | instid1(VALU_DEP_1)
	v_sub_nc_u16 v68, v68, v86
	v_and_b32_e32 v68, 0xffff, v68
	s_wait_loadcnt_dscnt 0x20c
	s_delay_alu instid0(VALU_DEP_1) | instskip(SKIP_3) | instid1(VALU_DEP_2)
	v_dual_mul_f32 v108, v74, v15 :: v_dual_lshlrev_b32 v95, 4, v68
	v_mul_f32_e32 v74, v74, v14
	v_add3_u32 v103, 0, v107, v103
	s_wait_loadcnt_dscnt 0x10b
	v_dual_fmac_f32 v74, v73, v15 :: v_dual_mul_f32 v15, v76, v38
	v_and_b32_e32 v46, 0xffff, v46
	v_mul_u32_u24_e32 v84, 0xda75, v84
	s_delay_alu instid0(VALU_DEP_3) | instskip(NEXT) | instid1(VALU_DEP_3)
	v_dual_fmac_f32 v15, v75, v39 :: v_dual_lshlrev_b32 v68, 3, v68
	v_mul_u32_u24_e32 v46, 0xda75, v46
	s_delay_alu instid0(VALU_DEP_3) | instskip(NEXT) | instid1(VALU_DEP_3)
	v_lshrrev_b32_e32 v84, 22, v84
	v_add3_u32 v68, 0, v104, v68
	v_mul_f32_e32 v104, v72, v3
	v_mul_f32_e32 v72, v72, v2
	v_lshrrev_b32_e32 v46, 22, v46
	v_mul_u32_u24_e32 v83, 0xda75, v83
	v_mul_lo_u16 v84, 0x96, v84
	v_fma_f32 v2, v71, v2, -v104
	v_fmac_f32_e32 v72, v71, v3
	v_mul_lo_u16 v87, 0x96, v46
	v_lshrrev_b32_e32 v83, 22, v83
	v_sub_nc_u16 v69, v69, v84
	v_fma_f32 v3, v73, v14, -v108
	v_mul_f32_e32 v14, v76, v39
	v_sub_f32_e32 v39, v72, v74
	v_sub_nc_u16 v87, v59, v87
	v_mul_lo_u16 v83, 0x96, v83
	v_and_b32_e32 v69, 0xffff, v69
	s_wait_loadcnt_dscnt 0xa
	v_dual_mul_f32 v76, v80, v37 :: v_dual_mul_f32 v71, v78, v35
	v_and_b32_e32 v105, 0xffff, v87
	v_mul_lo_u16 v87, 0x96, v85
	v_sub_nc_u16 v83, v58, v83
	v_lshlrev_b32_e32 v91, 4, v69
	v_dual_mul_f32 v73, v78, v34 :: v_dual_mul_f32 v78, v80, v36
	s_delay_alu instid0(VALU_DEP_4) | instskip(NEXT) | instid1(VALU_DEP_4)
	v_sub_nc_u16 v66, v66, v87
	v_and_b32_e32 v106, 0xffff, v83
	v_lshlrev_b32_e32 v83, 4, v105
	v_fma_f32 v14, v75, v38, -v14
	s_delay_alu instid0(VALU_DEP_4) | instskip(NEXT) | instid1(VALU_DEP_4)
	v_dual_sub_f32 v75, v2, v3 :: v_dual_and_b32 v66, 0xffff, v66
	v_lshlrev_b32_e32 v88, 4, v106
	s_clause 0x1
	global_load_b128 v[83:86], v83, s[4:5] offset:1120
	global_load_b128 v[91:94], v91, s[4:5] offset:1120
	v_dual_mul_f32 v80, v82, v33 :: v_dual_lshlrev_b32 v99, 4, v66
	v_fma_f32 v34, v77, v34, -v71
	s_wait_dscnt 0x8
	v_add_f32_e32 v71, v55, v72
	s_clause 0x2
	global_load_b128 v[87:90], v88, s[4:5] offset:1120
	global_load_b128 v[95:98], v95, s[4:5] offset:1120
	;; [unrolled: 1-line block ×3, first 2 shown]
	v_mul_u32_u24_e32 v46, 0xe10, v46
	v_dual_mul_f32 v82, v82, v32 :: v_dual_lshlrev_b32 v105, 3, v105
	v_lshl_add_u32 v106, v106, 3, 0
	v_lshl_add_u32 v69, v69, 3, 0
	;; [unrolled: 1-line block ×3, first 2 shown]
	s_delay_alu instid0(VALU_DEP_4)
	v_add3_u32 v46, 0, v46, v105
	v_fmac_f32_e32 v73, v77, v35
	v_dual_add_f32 v38, v2, v3 :: v_dual_add_nc_u32 v105, 0x1c00, v106
	v_dual_add_f32 v72, v72, v74 :: v_dual_add_nc_u32 v107, 0x2800, v69
	v_add_f32_e32 v35, v54, v2
	v_dual_fmac_f32 v78, v79, v37 :: v_dual_add_nc_u32 v109, 0x3800, v66
	v_fma_f32 v37, v81, v32, -v80
	v_fma_f32 v54, -0.5, v38, v54
	s_delay_alu instid0(VALU_DEP_4)
	v_dual_add_f32 v2, v35, v3 :: v_dual_fmac_f32 v55, -0.5, v72
	v_dual_fmac_f32 v82, v81, v33 :: v_dual_add_f32 v3, v71, v74
	s_wait_dscnt 0x6
	v_dual_add_f32 v32, v48, v14 :: v_dual_add_f32 v35, v49, v15
	v_add_f32_e32 v33, v14, v34
	v_dual_add_f32 v71, v15, v73 :: v_dual_sub_f32 v72, v14, v34
	v_fma_f32 v36, v79, v36, -v76
	v_sub_f32_e32 v38, v15, v73
	v_fmamk_f32 v14, v39, 0x3f5db3d7, v54
	v_dual_fmac_f32 v54, 0xbf5db3d7, v39 :: v_dual_fmamk_f32 v15, v75, 0xbf5db3d7, v55
	v_dual_add_f32 v76, v51, v78 :: v_dual_fmac_f32 v49, -0.5, v71
	v_add_f32_e32 v77, v78, v82
	v_add_f32_e32 v32, v32, v34
	v_fma_f32 v48, -0.5, v33, v48
	v_add_f32_e32 v33, v35, v73
	v_fmac_f32_e32 v55, 0x3f5db3d7, v75
	global_wb scope:SCOPE_SE
	s_wait_loadcnt_dscnt 0x0
	s_barrier_signal -1
	s_barrier_wait -1
	global_inv scope:SCOPE_SE
	v_dual_add_f32 v39, v50, v36 :: v_dual_add_f32 v74, v36, v37
	v_dual_sub_f32 v75, v78, v82 :: v_dual_sub_f32 v78, v36, v37
	ds_store_2addr_b64 v67, v[2:3], v[14:15] offset1:150
	ds_store_b64 v67, v[54:55] offset:2400
	v_fmac_f32_e32 v51, -0.5, v77
	v_fma_f32 v50, -0.5, v74, v50
	v_add_f32_e32 v35, v76, v82
	s_delay_alu instid0(VALU_DEP_3)
	v_fmamk_f32 v3, v78, 0xbf5db3d7, v51
	v_fmac_f32_e32 v51, 0x3f5db3d7, v78
	v_mul_f32_e32 v71, v84, v29
	v_mul_f32_e32 v73, v84, v28
	;; [unrolled: 1-line block ×5, first 2 shown]
	v_dual_mul_f32 v94, v16, v94 :: v_dual_mul_f32 v81, v31, v88
	v_mul_f32_e32 v84, v30, v88
	v_mul_f32_e32 v86, v27, v90
	v_dual_mul_f32 v88, v26, v90 :: v_dual_mul_f32 v111, v13, v100
	v_mul_f32_e32 v90, v21, v92
	v_mul_f32_e32 v92, v20, v92
	;; [unrolled: 1-line block ×3, first 2 shown]
	v_dual_mul_f32 v96, v22, v96 :: v_dual_fmac_f32 v73, v83, v29
	v_mul_f32_e32 v110, v19, v98
	v_mul_f32_e32 v98, v18, v98
	v_fma_f32 v14, v83, v28, -v71
	v_fma_f32 v15, v24, v85, -v79
	v_mul_f32_e32 v112, v53, v102
	v_mul_f32_e32 v100, v12, v100
	;; [unrolled: 1-line block ×3, first 2 shown]
	v_dual_add_f32 v34, v39, v37 :: v_dual_fmamk_f32 v37, v72, 0xbf5db3d7, v49
	v_fmac_f32_e32 v49, 0x3f5db3d7, v72
	v_fma_f32 v20, v20, v91, -v90
	v_fma_f32 v16, v16, v93, -v104
	v_fmac_f32_e32 v80, v25, v85
	v_fma_f32 v18, v18, v97, -v110
	v_fmac_f32_e32 v96, v23, v95
	v_fmac_f32_e32 v92, v21, v91
	v_fma_f32 v12, v12, v99, -v111
	v_add_f32_e32 v21, v14, v15
	v_add_f32_e32 v23, v5, v73
	v_fmac_f32_e32 v98, v19, v97
	v_fma_f32 v19, v52, v101, -v112
	v_fmac_f32_e32 v94, v17, v93
	v_fma_f32 v17, v22, v95, -v108
	v_fma_f32 v25, v26, v89, -v86
	v_dual_fmac_f32 v88, v27, v89 :: v_dual_sub_f32 v55, v20, v16
	v_dual_sub_f32 v27, v14, v15 :: v_dual_fmac_f32 v102, v53, v101
	v_dual_add_f32 v39, v20, v16 :: v_dual_fmac_f32 v100, v13, v99
	v_fmamk_f32 v2, v75, 0x3f5db3d7, v50
	v_fmac_f32_e32 v50, 0xbf5db3d7, v75
	v_sub_f32_e32 v22, v73, v80
	v_add_f32_e32 v71, v17, v18
	v_sub_f32_e32 v75, v17, v18
	v_add_f32_e32 v74, v96, v98
	v_add_f32_e32 v26, v73, v80
	;; [unrolled: 1-line block ×3, first 2 shown]
	v_dual_fmac_f32 v84, v31, v87 :: v_dual_add_f32 v53, v9, v92
	v_fmamk_f32 v36, v38, 0x3f5db3d7, v48
	v_fmac_f32_e32 v48, 0xbf5db3d7, v38
	v_fma_f32 v24, v30, v87, -v81
	s_delay_alu instid0(VALU_DEP_4) | instskip(SKIP_2) | instid1(VALU_DEP_4)
	v_add_f32_e32 v31, v84, v88
	v_dual_add_f32 v13, v4, v14 :: v_dual_add_f32 v30, v7, v84
	v_sub_f32_e32 v29, v84, v88
	v_add_f32_e32 v28, v24, v25
	v_dual_add_f32 v77, v12, v19 :: v_dual_add_f32 v14, v6, v24
	v_sub_f32_e32 v82, v12, v19
	ds_store_2addr_b64 v103, v[34:35], v[2:3] offset1:150
	ds_store_b64 v103, v[50:51] offset:2400
	ds_store_2addr_b64 v70, v[32:33], v[36:37] offset0:96 offset1:246
	ds_store_b64 v67, v[48:49] offset:6240
	v_dual_add_f32 v2, v13, v15 :: v_dual_add_f32 v3, v23, v80
	v_add_f32_e32 v79, v1, v100
	v_dual_add_f32 v13, v30, v88 :: v_dual_sub_f32 v24, v24, v25
	v_add_f32_e32 v81, v100, v102
	v_fmac_f32_e32 v7, -0.5, v31
	v_dual_fmac_f32 v11, -0.5, v74 :: v_dual_add_f32 v76, v0, v12
	v_fma_f32 v5, -0.5, v26, v5
	v_add_f32_e32 v38, v8, v20
	v_add_f32_e32 v20, v10, v17
	v_sub_f32_e32 v52, v92, v94
	v_fma_f32 v4, -0.5, v21, v4
	v_add_f32_e32 v15, v53, v94
	v_fmac_f32_e32 v1, -0.5, v81
	v_dual_add_f32 v12, v14, v25 :: v_dual_fmamk_f32 v21, v27, 0xbf5db3d7, v5
	v_add_f32_e32 v14, v38, v16
	v_dual_add_f32 v16, v20, v18 :: v_dual_fmac_f32 v5, 0x3f5db3d7, v27
	v_dual_fmamk_f32 v27, v75, 0xbf5db3d7, v11 :: v_dual_add_f32 v18, v76, v19
	v_add_f32_e32 v19, v79, v102
	v_add_f32_e32 v54, v92, v94
	;; [unrolled: 1-line block ×3, first 2 shown]
	v_fma_f32 v6, -0.5, v28, v6
	v_fma_f32 v8, -0.5, v39, v8
	v_fmamk_f32 v23, v24, 0xbf5db3d7, v7
	v_fmac_f32_e32 v7, 0x3f5db3d7, v24
	v_fma_f32 v9, -0.5, v54, v9
	v_sub_f32_e32 v72, v96, v98
	v_dual_sub_f32 v78, v100, v102 :: v_dual_fmac_f32 v11, 0x3f5db3d7, v75
	v_fma_f32 v10, -0.5, v71, v10
	v_fma_f32 v0, -0.5, v77, v0
	v_fmamk_f32 v20, v22, 0x3f5db3d7, v4
	v_fmac_f32_e32 v4, 0xbf5db3d7, v22
	v_fmamk_f32 v22, v29, 0x3f5db3d7, v6
	v_fmamk_f32 v24, v52, 0x3f5db3d7, v8
	v_dual_fmamk_f32 v25, v55, 0xbf5db3d7, v9 :: v_dual_fmac_f32 v6, 0xbf5db3d7, v29
	v_fmac_f32_e32 v8, 0xbf5db3d7, v52
	v_dual_fmac_f32 v9, 0x3f5db3d7, v55 :: v_dual_fmamk_f32 v26, v72, 0x3f5db3d7, v10
	v_fmac_f32_e32 v10, 0xbf5db3d7, v72
	v_fmamk_f32 v28, v78, 0x3f5db3d7, v0
	v_dual_fmac_f32 v0, 0xbf5db3d7, v78 :: v_dual_fmamk_f32 v29, v82, 0xbf5db3d7, v1
	v_fmac_f32_e32 v1, 0x3f5db3d7, v82
	ds_store_2addr_b64 v46, v[2:3], v[20:21] offset1:150
	ds_store_b64 v46, v[4:5] offset:2400
	ds_store_2addr_b64 v105, v[12:13], v[22:23] offset0:4 offset1:154
	ds_store_2addr_b64 v107, v[14:15], v[24:25] offset0:70 offset1:220
	ds_store_b64 v106, v[6:7] offset:9600
	ds_store_b64 v69, v[8:9] offset:13200
	ds_store_2addr_b64 v68, v[16:17], v[26:27] offset1:150
	ds_store_b64 v68, v[10:11] offset:2400
	ds_store_2addr_b64 v109, v[18:19], v[28:29] offset0:8 offset1:158
	ds_store_b64 v66, v[0:1] offset:16800
	s_and_saveexec_b32 s2, s1
	s_cbranch_execz .LBB0_23
; %bb.22:
	v_lshrrev_b16 v0, 1, v61
	s_delay_alu instid0(VALU_DEP_1) | instskip(NEXT) | instid1(VALU_DEP_1)
	v_and_b32_e32 v0, 0xffff, v0
	v_mul_u32_u24_e32 v0, 0xda75, v0
	s_delay_alu instid0(VALU_DEP_1) | instskip(NEXT) | instid1(VALU_DEP_1)
	v_lshrrev_b32_e32 v0, 22, v0
	v_mul_lo_u16 v0, 0x96, v0
	s_delay_alu instid0(VALU_DEP_1) | instskip(NEXT) | instid1(VALU_DEP_1)
	v_sub_nc_u16 v0, v61, v0
	v_and_b32_e32 v4, 0xffff, v0
	s_delay_alu instid0(VALU_DEP_1)
	v_lshlrev_b32_e32 v0, 4, v4
	global_load_b128 v[0:3], v0, s[4:5] offset:1120
	s_wait_loadcnt 0x0
	v_mul_f32_e32 v5, v43, v1
	v_dual_mul_f32 v7, v40, v3 :: v_dual_mul_f32 v6, v42, v1
	v_mul_f32_e32 v1, v41, v3
	v_lshl_add_u32 v8, v4, 3, 0
	s_delay_alu instid0(VALU_DEP_4) | instskip(NEXT) | instid1(VALU_DEP_4)
	v_fma_f32 v3, v42, v0, -v5
	v_dual_fmac_f32 v7, v41, v2 :: v_dual_fmac_f32 v6, v43, v0
	s_delay_alu instid0(VALU_DEP_4) | instskip(NEXT) | instid1(VALU_DEP_3)
	v_fma_f32 v2, v40, v2, -v1
	v_add_f32_e32 v11, v44, v3
	s_delay_alu instid0(VALU_DEP_3) | instskip(NEXT) | instid1(VALU_DEP_3)
	v_dual_add_f32 v0, v6, v7 :: v_dual_add_nc_u32 v9, 0x3800, v8
	v_add_f32_e32 v5, v3, v2
	s_delay_alu instid0(VALU_DEP_2) | instskip(SKIP_4) | instid1(VALU_DEP_4)
	v_fma_f32 v1, -0.5, v0, v45
	v_add_f32_e32 v10, v45, v6
	v_sub_f32_e32 v4, v3, v2
	v_sub_f32_e32 v6, v6, v7
	v_fma_f32 v0, -0.5, v5, v44
	v_dual_add_f32 v3, v10, v7 :: v_dual_add_f32 v2, v11, v2
	s_delay_alu instid0(VALU_DEP_4) | instskip(NEXT) | instid1(VALU_DEP_3)
	v_fmamk_f32 v5, v4, 0x3f5db3d7, v1
	v_dual_fmac_f32 v1, 0xbf5db3d7, v4 :: v_dual_fmamk_f32 v4, v6, 0xbf5db3d7, v0
	v_fmac_f32_e32 v0, 0x3f5db3d7, v6
	ds_store_2addr_b64 v9, v[2:3], v[0:1] offset0:8 offset1:158
	ds_store_b64 v8, v[4:5] offset:16800
.LBB0_23:
	s_wait_alu 0xfffe
	s_or_b32 exec_lo, exec_lo, s2
	v_lshlrev_b32_e32 v46, 2, v60
	global_wb scope:SCOPE_SE
	s_wait_dscnt 0x0
	s_barrier_signal -1
	s_barrier_wait -1
	global_inv scope:SCOPE_SE
	v_lshlrev_b64_e32 v[0:1], 3, v[46:47]
	s_mov_b32 s2, exec_lo
	s_delay_alu instid0(VALU_DEP_1) | instskip(SKIP_1) | instid1(VALU_DEP_2)
	v_add_co_u32 v0, s1, s4, v0
	s_wait_alu 0xf1ff
	v_add_co_ci_u32_e64 v1, s1, s5, v1, s1
	s_clause 0x1
	global_load_b128 v[15:18], v[0:1], off offset:3520
	global_load_b128 v[19:22], v[0:1], off offset:3536
	v_lshlrev_b32_e32 v46, 2, v65
	s_delay_alu instid0(VALU_DEP_1) | instskip(SKIP_1) | instid1(VALU_DEP_2)
	v_lshlrev_b64_e32 v[2:3], 3, v[46:47]
	v_lshlrev_b32_e32 v46, 2, v64
	v_add_co_u32 v0, s1, s4, v2
	s_wait_alu 0xf1ff
	s_delay_alu instid0(VALU_DEP_3) | instskip(NEXT) | instid1(VALU_DEP_3)
	v_add_co_ci_u32_e64 v1, s1, s5, v3, s1
	v_lshlrev_b64_e32 v[2:3], 3, v[46:47]
	s_clause 0x1
	global_load_b128 v[23:26], v[0:1], off offset:3520
	global_load_b128 v[27:30], v[0:1], off offset:3536
	v_lshlrev_b32_e32 v46, 2, v59
	v_add_co_u32 v0, s1, s4, v2
	s_wait_alu 0xf1ff
	v_add_co_ci_u32_e64 v1, s1, s5, v3, s1
	s_clause 0x1
	global_load_b128 v[31:34], v[0:1], off offset:3520
	global_load_b128 v[35:38], v[0:1], off offset:3536
	v_lshlrev_b64_e32 v[0:1], 3, v[46:47]
	v_lshlrev_b32_e32 v46, 2, v58
	v_add_nc_u32_e32 v2, 0x2800, v67
	s_delay_alu instid0(VALU_DEP_3) | instskip(SKIP_1) | instid1(VALU_DEP_4)
	v_add_co_u32 v0, s1, s4, v0
	s_wait_alu 0xf1ff
	v_add_co_ci_u32_e64 v1, s1, s5, v1, s1
	s_clause 0x1
	global_load_b128 v[39:42], v[0:1], off offset:3520
	global_load_b128 v[48:51], v[0:1], off offset:3536
	v_lshlrev_b64_e32 v[0:1], 3, v[46:47]
	s_delay_alu instid0(VALU_DEP_1) | instskip(SKIP_1) | instid1(VALU_DEP_2)
	v_add_co_u32 v0, s1, s4, v0
	s_wait_alu 0xf1ff
	v_add_co_ci_u32_e64 v1, s1, s5, v1, s1
	s_clause 0x1
	global_load_b128 v[43:46], v[0:1], off offset:3520
	global_load_b128 v[52:55], v[0:1], off offset:3536
	v_add_nc_u32_e32 v0, 0xc00, v67
	ds_load_b64 v[8:9], v67
	ds_load_2addr_b64 v[68:71], v0 offset0:66 offset1:156
	v_add_nc_u32_e32 v1, 0x1800, v67
	v_add_nc_u32_e32 v0, 0x1c00, v67
	s_wait_loadcnt_dscnt 0x900
	v_mul_f32_e32 v10, v16, v69
	ds_load_2addr_b64 v[72:75], v1 offset0:42 offset1:132
	v_add_nc_u32_e32 v3, 0x3400, v67
	v_mul_f32_e32 v11, v16, v68
	v_fma_f32 v10, v15, v68, -v10
	s_delay_alu instid0(VALU_DEP_2) | instskip(SKIP_1) | instid1(VALU_DEP_2)
	v_dual_fmac_f32 v11, v15, v69 :: v_dual_add_nc_u32 v14, 0x800, v67
	s_wait_dscnt 0x0
	v_dual_add_f32 v59, v8, v10 :: v_dual_mul_f32 v16, v18, v75
	v_mul_f32_e32 v18, v18, v74
	ds_load_2addr_b64 v[76:79], v2 offset0:70 offset1:160
	ds_load_2addr_b64 v[80:83], v3 offset0:46 offset1:136
	ds_load_b64 v[6:7], v57
	ds_load_b64 v[4:5], v56
	v_add_nc_u32_e32 v1, 0x3800, v67
	v_add_nc_u32_e32 v2, 0x1000, v67
	v_fma_f32 v15, v17, v74, -v16
	v_add_nc_u32_e32 v3, 0x2c00, v67
	v_add_nc_u32_e32 v13, 0x2000, v67
	s_delay_alu instid0(VALU_DEP_3)
	v_sub_f32_e32 v69, v10, v15
	s_wait_loadcnt_dscnt 0x803
	v_mul_f32_e32 v47, v20, v77
	v_mul_f32_e32 v20, v20, v76
	s_wait_dscnt 0x2
	v_mul_f32_e32 v58, v83, v22
	v_mul_f32_e32 v22, v82, v22
	v_fma_f32 v16, v19, v76, -v47
	v_add_nc_u32_e32 v12, 0x4000, v67
	v_fmac_f32_e32 v18, v17, v75
	v_fmac_f32_e32 v20, v19, v77
	v_fma_f32 v47, v82, v21, -v58
	v_add_f32_e32 v61, v15, v16
	ds_load_2addr_b64 v[84:87], v0 offset0:94 offset1:184
	ds_load_2addr_b64 v[88:91], v1 offset0:98 offset1:188
	ds_load_2addr_b64 v[92:95], v2 offset0:118 offset1:208
	ds_load_2addr_b64 v[96:99], v3 offset0:122 offset1:212
	ds_load_2addr_b64 v[0:3], v14 offset0:14 offset1:104
	ds_load_2addr_b64 v[100:103], v13 offset0:146 offset1:236
	ds_load_2addr_b64 v[104:107], v12 offset0:22 offset1:112
	v_fmac_f32_e32 v22, v83, v21
	s_wait_loadcnt 0x7
	v_mul_f32_e32 v17, v71, v24
	v_mul_f32_e32 v19, v70, v24
	global_wb scope:SCOPE_SE
	s_wait_loadcnt_dscnt 0x0
	s_barrier_signal -1
	s_barrier_wait -1
	v_fma_f32 v17, v70, v23, -v17
	global_inv scope:SCOPE_SE
	v_fmac_f32_e32 v19, v71, v23
	v_add_f32_e32 v71, v10, v47
	v_sub_f32_e32 v75, v16, v47
	v_sub_f32_e32 v83, v22, v20
	v_mul_f32_e32 v21, v85, v26
	v_mul_f32_e32 v24, v84, v26
	;; [unrolled: 1-line block ×4, first 2 shown]
	s_delay_alu instid0(VALU_DEP_4) | instskip(NEXT) | instid1(VALU_DEP_3)
	v_fma_f32 v21, v84, v25, -v21
	v_fma_f32 v23, v78, v27, -v26
	s_delay_alu instid0(VALU_DEP_3) | instskip(SKIP_3) | instid1(VALU_DEP_3)
	v_fmac_f32_e32 v28, v79, v27
	v_dual_sub_f32 v79, v15, v16 :: v_dual_mul_f32 v58, v89, v30
	v_dual_add_f32 v77, v18, v20 :: v_dual_mul_f32 v30, v88, v30
	v_dual_fmac_f32 v24, v85, v25 :: v_dual_sub_f32 v85, v18, v11
	v_fma_f32 v58, v88, v29, -v58
	s_delay_alu instid0(VALU_DEP_3)
	v_dual_mul_f32 v27, v87, v34 :: v_dual_fmac_f32 v30, v89, v29
	v_mul_f32_e32 v29, v86, v34
	v_mul_f32_e32 v25, v93, v32
	v_mul_f32_e32 v26, v92, v32
	v_mul_f32_e32 v32, v97, v36
	v_sub_f32_e32 v70, v47, v16
	v_dual_add_f32 v84, v11, v22 :: v_dual_sub_f32 v89, v21, v23
	v_sub_f32_e32 v88, v20, v22
	v_sub_f32_e32 v74, v15, v10
	v_fma_f32 v27, v86, v33, -v27
	v_fmac_f32_e32 v29, v87, v33
	v_dual_mul_f32 v33, v94, v40 :: v_dual_add_f32 v76, v9, v11
	v_dual_sub_f32 v82, v11, v18 :: v_dual_add_f32 v87, v24, v28
	v_sub_f32_e32 v66, v11, v22
	v_fma_f32 v11, -0.5, v77, v9
	v_dual_sub_f32 v77, v58, v23 :: v_dual_mul_f32 v34, v96, v36
	v_mul_f32_e32 v36, v91, v38
	v_dual_mul_f32 v38, v90, v38 :: v_dual_fmac_f32 v9, -0.5, v84
	v_sub_f32_e32 v68, v18, v20
	v_fma_f32 v25, v92, v31, -v25
	v_fmac_f32_e32 v34, v97, v35
	s_delay_alu instid0(VALU_DEP_4)
	v_fmac_f32_e32 v38, v91, v37
	v_add_f32_e32 v15, v59, v15
	v_add_f32_e32 v59, v74, v75
	v_fma_f32 v86, v90, v37, -v36
	v_dual_mul_f32 v36, v100, v42 :: v_dual_fmac_f32 v33, v95, v39
	v_dual_mul_f32 v37, v99, v49 :: v_dual_fmac_f32 v26, v93, v31
	v_fma_f32 v31, v96, v35, -v32
	v_dual_mul_f32 v32, v95, v40 :: v_dual_mul_f32 v35, v101, v42
	v_mul_f32_e32 v40, v98, v49
	v_mul_f32_e32 v42, v105, v51
	;; [unrolled: 1-line block ×3, first 2 shown]
	v_sub_f32_e32 v75, v24, v28
	v_add_f32_e32 v18, v76, v18
	v_sub_f32_e32 v78, v10, v47
	v_fma_f32 v10, -0.5, v61, v8
	v_add_f32_e32 v51, v69, v70
	v_fma_f32 v8, -0.5, v71, v8
	v_add_f32_e32 v61, v82, v83
	v_sub_f32_e32 v83, v21, v17
	v_add_f32_e32 v69, v85, v88
	v_dual_add_f32 v71, v21, v23 :: v_dual_add_f32 v70, v6, v17
	v_dual_add_f32 v82, v17, v58 :: v_dual_add_f32 v85, v7, v19
	v_sub_f32_e32 v90, v19, v24
	v_dual_sub_f32 v91, v30, v28 :: v_dual_add_f32 v92, v19, v30
	v_sub_f32_e32 v93, v24, v19
	v_fma_f32 v35, v100, v41, -v35
	v_fmac_f32_e32 v36, v101, v41
	v_fmac_f32_e32 v49, v105, v50
	v_fma_f32 v32, v94, v39, -v32
	v_fma_f32 v39, v98, v48, -v37
	v_mul_f32_e32 v37, v73, v44
	v_mul_f32_e32 v41, v103, v46
	v_fmac_f32_e32 v40, v99, v48
	v_fma_f32 v48, v104, v50, -v42
	v_mul_f32_e32 v50, v72, v44
	v_dual_mul_f32 v42, v81, v53 :: v_dual_add_f32 v105, v26, v38
	v_dual_mul_f32 v53, v80, v53 :: v_dual_mul_f32 v44, v107, v55
	v_add_f32_e32 v97, v5, v26
	v_dual_mul_f32 v55, v106, v55 :: v_dual_sub_f32 v76, v17, v21
	v_dual_add_f32 v95, v18, v20 :: v_dual_sub_f32 v84, v23, v58
	v_sub_f32_e32 v74, v19, v30
	v_mul_f32_e32 v94, v102, v46
	v_dual_add_f32 v46, v15, v16 :: v_dual_sub_f32 v99, v25, v86
	v_fmamk_f32 v15, v66, 0x3f737871, v10
	v_dual_fmac_f32 v10, 0xbf737871, v66 :: v_dual_sub_f32 v101, v26, v29
	v_fmamk_f32 v18, v79, 0x3f737871, v9
	v_fmac_f32_e32 v9, 0xbf737871, v79
	v_fma_f32 v19, -0.5, v71, v6
	v_add_f32_e32 v71, v76, v77
	v_fma_f32 v6, -0.5, v82, v6
	v_fmamk_f32 v16, v78, 0xbf737871, v11
	v_fmac_f32_e32 v11, 0x3f737871, v78
	v_dual_sub_f32 v88, v17, v58 :: v_dual_add_f32 v77, v90, v91
	v_fmamk_f32 v17, v68, 0xbf737871, v8
	v_dual_fmac_f32 v8, 0x3f737871, v68 :: v_dual_sub_f32 v109, v34, v38
	v_dual_add_f32 v70, v70, v21 :: v_dual_fmac_f32 v53, v81, v52
	s_delay_alu instid0(VALU_DEP_3)
	v_dual_add_f32 v76, v83, v84 :: v_dual_fmac_f32 v17, 0x3f167918, v66
	v_dual_add_f32 v24, v85, v24 :: v_dual_fmac_f32 v55, v107, v54
	v_fma_f32 v20, -0.5, v87, v7
	v_add_f32_e32 v83, v4, v25
	v_dual_sub_f32 v96, v28, v30 :: v_dual_fmac_f32 v7, -0.5, v92
	v_dual_add_f32 v84, v27, v31 :: v_dual_fmac_f32 v15, 0x3f167918, v68
	v_dual_sub_f32 v90, v25, v27 :: v_dual_fmac_f32 v9, 0x3f167918, v78
	v_dual_sub_f32 v91, v86, v31 :: v_dual_add_f32 v92, v25, v86
	s_delay_alu instid0(VALU_DEP_4)
	v_dual_add_f32 v82, v93, v96 :: v_dual_fmac_f32 v11, 0x3f167918, v79
	v_sub_f32_e32 v85, v26, v38
	v_sub_f32_e32 v87, v29, v34
	;; [unrolled: 1-line block ×4, first 2 shown]
	v_add_f32_e32 v98, v29, v34
	v_sub_f32_e32 v100, v27, v31
	v_sub_f32_e32 v104, v38, v34
	;; [unrolled: 1-line block ×3, first 2 shown]
	v_fma_f32 v72, v72, v43, -v37
	v_fmac_f32_e32 v50, v73, v43
	v_fma_f32 v73, v102, v45, -v41
	v_fma_f32 v80, v80, v52, -v42
	;; [unrolled: 1-line block ×3, first 2 shown]
	v_dual_add_f32 v21, v46, v47 :: v_dual_fmac_f32 v10, 0xbf167918, v68
	v_dual_add_f32 v43, v97, v29 :: v_dual_fmac_f32 v8, 0xbf167918, v66
	v_dual_add_f32 v22, v95, v22 :: v_dual_add_f32 v81, v32, v48
	v_dual_fmac_f32 v18, 0xbf167918, v78 :: v_dual_add_f32 v37, v70, v23
	v_fmamk_f32 v23, v74, 0x3f737871, v19
	v_fmac_f32_e32 v19, 0xbf737871, v74
	v_fmamk_f32 v25, v75, 0xbf737871, v6
	v_dual_fmac_f32 v6, 0x3f737871, v75 :: v_dual_sub_f32 v95, v33, v36
	v_dual_add_f32 v41, v24, v28 :: v_dual_fmamk_f32 v26, v89, 0x3f737871, v7
	v_dual_fmac_f32 v7, 0xbf737871, v89 :: v_dual_add_f32 v42, v83, v27
	v_fmac_f32_e32 v11, 0x3e9e377a, v61
	v_fma_f32 v27, -0.5, v84, v4
	v_dual_add_f32 v44, v90, v91 :: v_dual_fmac_f32 v9, 0x3e9e377a, v69
	v_fma_f32 v4, -0.5, v92, v4
	v_dual_add_f32 v54, v0, v32 :: v_dual_fmac_f32 v17, 0x3e9e377a, v59
	v_dual_add_f32 v66, v35, v39 :: v_dual_add_f32 v29, v37, v58
	v_dual_add_f32 v90, v1, v33 :: v_dual_fmac_f32 v7, 0x3f167918, v88
	v_dual_add_f32 v91, v36, v40 :: v_dual_fmac_f32 v94, v103, v45
	;; [unrolled: 1-line block ×3, first 2 shown]
	v_dual_sub_f32 v83, v35, v32 :: v_dual_fmamk_f32 v24, v88, 0xbf737871, v20
	v_dual_sub_f32 v93, v35, v39 :: v_dual_fmac_f32 v20, 0x3f737871, v88
	v_add_f32_e32 v97, v33, v49
	v_fma_f32 v28, -0.5, v98, v5
	v_dual_add_f32 v46, v101, v104 :: v_dual_fmac_f32 v15, 0x3e9e377a, v51
	v_fmac_f32_e32 v5, -0.5, v105
	v_dual_sub_f32 v68, v33, v49 :: v_dual_fmac_f32 v23, 0x3f167918, v75
	v_dual_sub_f32 v70, v36, v40 :: v_dual_fmac_f32 v19, 0xbf167918, v75
	;; [unrolled: 1-line block ×3, first 2 shown]
	v_dual_sub_f32 v79, v48, v39 :: v_dual_sub_f32 v84, v39, v48
	v_dual_add_f32 v37, v42, v31 :: v_dual_sub_f32 v92, v32, v48
	v_fmamk_f32 v31, v85, 0x3f737871, v27
	v_dual_sub_f32 v96, v49, v40 :: v_dual_fmac_f32 v27, 0xbf737871, v85
	v_dual_sub_f32 v98, v36, v33 :: v_dual_fmamk_f32 v33, v87, 0xbf737871, v4
	v_dual_sub_f32 v101, v40, v49 :: v_dual_fmac_f32 v10, 0x3e9e377a, v51
	v_fmac_f32_e32 v8, 0x3e9e377a, v59
	v_fmac_f32_e32 v6, 0xbf167918, v74
	v_add_f32_e32 v30, v41, v30
	v_dual_add_f32 v41, v43, v34 :: v_dual_add_f32 v42, v54, v35
	v_fmac_f32_e32 v25, 0x3e9e377a, v76
	v_fma_f32 v35, -0.5, v66, v0
	v_fmac_f32_e32 v4, 0x3f737871, v87
	v_fma_f32 v0, -0.5, v81, v0
	v_add_f32_e32 v43, v90, v36
	v_fma_f32 v36, -0.5, v91, v1
	v_dual_fmac_f32 v16, 0x3e9e377a, v61 :: v_dual_add_f32 v51, v78, v79
	v_dual_fmac_f32 v18, 0x3e9e377a, v69 :: v_dual_add_f32 v61, v2, v72
	v_fmamk_f32 v32, v99, 0xbf737871, v28
	v_fmac_f32_e32 v28, 0x3f737871, v99
	v_dual_add_f32 v54, v83, v84 :: v_dual_fmac_f32 v23, 0x3e9e377a, v71
	v_dual_add_f32 v58, v95, v96 :: v_dual_fmac_f32 v19, 0x3e9e377a, v71
	v_dual_add_f32 v59, v98, v101 :: v_dual_add_f32 v66, v73, v80
	v_fmac_f32_e32 v7, 0x3e9e377a, v82
	v_dual_fmac_f32 v33, 0x3f167918, v85 :: v_dual_add_f32 v38, v41, v38
	v_dual_fmac_f32 v6, 0x3e9e377a, v76 :: v_dual_add_f32 v71, v42, v39
	v_fmamk_f32 v34, v100, 0x3f737871, v5
	v_fmac_f32_e32 v5, 0xbf737871, v100
	v_fmamk_f32 v39, v68, 0x3f737871, v35
	v_fmac_f32_e32 v35, 0xbf737871, v68
	v_dual_fmamk_f32 v41, v70, 0xbf737871, v0 :: v_dual_add_f32 v76, v43, v40
	v_fmamk_f32 v40, v92, 0xbf737871, v36
	s_delay_alu instid0(VALU_DEP_3)
	v_dual_fmac_f32 v4, 0xbf167918, v85 :: v_dual_fmac_f32 v35, 0xbf167918, v70
	v_add_f32_e32 v47, v108, v109
	v_dual_fmac_f32 v24, 0xbf167918, v89 :: v_dual_sub_f32 v69, v50, v55
	v_dual_fmac_f32 v20, 0x3f167918, v89 :: v_dual_add_f32 v37, v37, v86
	v_dual_fmac_f32 v26, 0xbf167918, v88 :: v_dual_sub_f32 v75, v72, v73
	v_fma_f32 v1, -0.5, v97, v1
	v_dual_sub_f32 v74, v94, v53 :: v_dual_fmac_f32 v31, 0x3f167918, v87
	v_dual_sub_f32 v78, v52, v80 :: v_dual_fmac_f32 v27, 0xbf167918, v87
	v_fmac_f32_e32 v5, 0x3f167918, v99
	v_dual_fmac_f32 v36, 0x3f737871, v92 :: v_dual_add_f32 v61, v61, v73
	v_fmac_f32_e32 v28, 0x3f167918, v100
	v_fma_f32 v43, -0.5, v66, v2
	v_fmac_f32_e32 v33, 0x3e9e377a, v45
	v_fmac_f32_e32 v39, 0x3f167918, v70
	v_dual_fmac_f32 v4, 0x3e9e377a, v45 :: v_dual_add_f32 v45, v71, v48
	v_fmac_f32_e32 v34, 0xbf167918, v99
	v_dual_fmac_f32 v24, 0x3e9e377a, v77 :: v_dual_fmac_f32 v31, 0x3e9e377a, v44
	v_dual_fmac_f32 v20, 0x3e9e377a, v77 :: v_dual_fmac_f32 v27, 0x3e9e377a, v44
	;; [unrolled: 1-line block ×3, first 2 shown]
	v_fmac_f32_e32 v32, 0xbf167918, v100
	v_fmac_f32_e32 v0, 0x3f737871, v70
	v_dual_fmac_f32 v41, 0x3f167918, v68 :: v_dual_fmac_f32 v36, 0x3f167918, v93
	v_fmac_f32_e32 v34, 0x3e9e377a, v47
	v_fmamk_f32 v47, v69, 0x3f737871, v43
	v_dual_fmac_f32 v43, 0xbf737871, v69 :: v_dual_add_f32 v48, v61, v80
	v_fmamk_f32 v42, v93, 0x3f737871, v1
	v_dual_fmac_f32 v1, 0xbf737871, v93 :: v_dual_add_f32 v44, v72, v52
	v_dual_fmac_f32 v28, 0x3e9e377a, v46 :: v_dual_fmac_f32 v35, 0x3e9e377a, v51
	v_fmac_f32_e32 v0, 0xbf167918, v68
	v_fmac_f32_e32 v40, 0xbf167918, v93
	s_delay_alu instid0(VALU_DEP_4)
	v_fmac_f32_e32 v1, 0x3f167918, v92
	v_fmac_f32_e32 v39, 0x3e9e377a, v51
	;; [unrolled: 1-line block ×3, first 2 shown]
	v_add_f32_e32 v51, v75, v78
	v_fmac_f32_e32 v43, 0xbf167918, v74
	v_fma_f32 v2, -0.5, v44, v2
	v_add_f32_e32 v44, v94, v53
	v_dual_fmac_f32 v32, 0x3e9e377a, v46 :: v_dual_fmac_f32 v1, 0x3e9e377a, v59
	v_add_f32_e32 v46, v76, v49
	v_add_f32_e32 v49, v48, v52
	v_fmac_f32_e32 v42, 0xbf167918, v92
	v_fmac_f32_e32 v41, 0x3e9e377a, v54
	v_dual_fmac_f32 v36, 0x3e9e377a, v58 :: v_dual_sub_f32 v61, v73, v80
	v_fmac_f32_e32 v43, 0x3e9e377a, v51
	s_delay_alu instid0(VALU_DEP_4) | instskip(SKIP_4) | instid1(VALU_DEP_2)
	v_fmac_f32_e32 v42, 0x3e9e377a, v59
	v_sub_f32_e32 v48, v73, v72
	v_dual_fmac_f32 v0, 0x3e9e377a, v54 :: v_dual_fmac_f32 v47, 0x3e9e377a, v51
	v_dual_fmamk_f32 v51, v74, 0xbf737871, v2 :: v_dual_sub_f32 v54, v80, v52
	v_dual_sub_f32 v59, v72, v52 :: v_dual_fmac_f32 v40, 0x3e9e377a, v58
	v_dual_add_f32 v58, v3, v50 :: v_dual_fmac_f32 v51, 0x3f167918, v69
	v_fmac_f32_e32 v2, 0x3f737871, v74
	s_delay_alu instid0(VALU_DEP_4) | instskip(SKIP_1) | instid1(VALU_DEP_4)
	v_add_f32_e32 v52, v48, v54
	v_fma_f32 v44, -0.5, v44, v3
	v_add_f32_e32 v54, v58, v94
	v_add_f32_e32 v58, v50, v55
	v_fmac_f32_e32 v2, 0xbf167918, v69
	v_fmac_f32_e32 v51, 0x3e9e377a, v52
	v_fmamk_f32 v48, v59, 0xbf737871, v44
	s_delay_alu instid0(VALU_DEP_4) | instskip(NEXT) | instid1(VALU_DEP_4)
	v_dual_sub_f32 v66, v55, v53 :: v_dual_fmac_f32 v3, -0.5, v58
	v_fmac_f32_e32 v2, 0x3e9e377a, v52
	v_sub_f32_e32 v58, v50, v94
	v_sub_f32_e32 v50, v94, v50
	v_fmac_f32_e32 v44, 0x3f737871, v59
	v_fmamk_f32 v52, v61, 0x3f737871, v3
	v_fmac_f32_e32 v3, 0xbf737871, v61
	v_fmac_f32_e32 v48, 0xbf167918, v61
	v_add_f32_e32 v58, v58, v66
	v_fmac_f32_e32 v44, 0x3f167918, v61
	v_fmac_f32_e32 v52, 0xbf167918, v59
	v_dual_fmac_f32 v3, 0x3f167918, v59 :: v_dual_add_f32 v54, v54, v53
	s_delay_alu instid0(VALU_DEP_4)
	v_dual_sub_f32 v53, v53, v55 :: v_dual_fmac_f32 v48, 0x3e9e377a, v58
	ds_store_b64 v67, v[21:22]
	ds_store_b64 v67, v[15:16] offset:3600
	ds_store_b64 v67, v[17:18] offset:7200
	;; [unrolled: 1-line block ×4, first 2 shown]
	ds_store_b64 v57, v[29:30]
	ds_store_b64 v57, v[23:24] offset:3600
	ds_store_b64 v57, v[25:26] offset:7200
	;; [unrolled: 1-line block ×4, first 2 shown]
	v_add_nc_u32_e32 v6, 0x1400, v67
	ds_store_b64 v56, v[37:38]
	ds_store_b64 v56, v[31:32] offset:3600
	ds_store_b64 v56, v[33:34] offset:7200
	;; [unrolled: 1-line block ×3, first 2 shown]
	v_add_f32_e32 v53, v50, v53
	v_add_f32_e32 v50, v54, v55
	v_add_nc_u32_e32 v4, 0x3000, v67
	v_fmac_f32_e32 v44, 0x3e9e377a, v58
                                        ; implicit-def: $vgpr5
                                        ; implicit-def: $vgpr7
	s_delay_alu instid0(VALU_DEP_4)
	v_fmac_f32_e32 v3, 0x3e9e377a, v53
	v_fmac_f32_e32 v52, 0x3e9e377a, v53
	ds_store_b64 v56, v[27:28] offset:14400
	ds_store_2addr_b64 v14, v[45:46], v[49:50] offset0:14 offset1:104
	ds_store_2addr_b64 v6, v[39:40], v[47:48] offset0:80 offset1:170
	;; [unrolled: 1-line block ×5, first 2 shown]
	global_wb scope:SCOPE_SE
	s_wait_dscnt 0x0
	s_barrier_signal -1
	s_barrier_wait -1
	global_inv scope:SCOPE_SE
	ds_load_b64 v[2:3], v67
	v_lshlrev_b32_e32 v0, 3, v60
	s_delay_alu instid0(VALU_DEP_1)
	v_sub_nc_u32_e32 v6, 0, v0
                                        ; implicit-def: $vgpr0_vgpr1
	v_cmpx_ne_u32_e32 0, v60
	s_wait_alu 0xfffe
	s_xor_b32 s2, exec_lo, s2
	s_cbranch_execz .LBB0_25
; %bb.24:
	ds_load_b64 v[4:5], v6 offset:18000
	s_wait_dscnt 0x0
	v_dual_mov_b32 v61, 0 :: v_dual_add_f32 v8, v5, v3
	s_delay_alu instid0(VALU_DEP_1) | instskip(SKIP_1) | instid1(VALU_DEP_3)
	v_lshlrev_b64_e32 v[0:1], 3, v[60:61]
	v_dual_sub_f32 v7, v2, v4 :: v_dual_add_f32 v2, v4, v2
	v_dual_sub_f32 v3, v3, v5 :: v_dual_mul_f32 v4, 0.5, v8
	s_delay_alu instid0(VALU_DEP_3) | instskip(SKIP_1) | instid1(VALU_DEP_4)
	v_add_co_u32 v0, s1, s4, v0
	s_wait_alu 0xf1ff
	v_add_co_ci_u32_e64 v1, s1, s5, v1, s1
	v_mul_f32_e32 v5, 0.5, v7
	v_mul_f32_e32 v3, 0.5, v3
	global_load_b64 v[0:1], v[0:1], off offset:17920
	s_wait_loadcnt 0x0
	v_mul_f32_e32 v7, v1, v5
	v_fma_f32 v8, v4, v1, v3
	v_fma_f32 v1, v4, v1, -v3
	s_delay_alu instid0(VALU_DEP_3) | instskip(SKIP_1) | instid1(VALU_DEP_4)
	v_fma_f32 v9, 0.5, v2, v7
	v_fma_f32 v2, v2, 0.5, -v7
	v_fma_f32 v7, -v0, v5, v8
	s_delay_alu instid0(VALU_DEP_4) | instskip(NEXT) | instid1(VALU_DEP_4)
	v_fma_f32 v5, -v0, v5, v1
	v_fmac_f32_e32 v9, v0, v4
	s_delay_alu instid0(VALU_DEP_4)
	v_fma_f32 v4, -v0, v4, v2
	v_dual_mov_b32 v0, v60 :: v_dual_mov_b32 v1, v61
                                        ; implicit-def: $vgpr2_vgpr3
	ds_store_b32 v67, v9
.LBB0_25:
	s_wait_alu 0xfffe
	s_and_not1_saveexec_b32 s1, s2
	s_cbranch_execz .LBB0_27
; %bb.26:
	s_wait_dscnt 0x0
	v_dual_mov_b32 v7, 0 :: v_dual_add_f32 v8, v2, v3
	v_sub_f32_e32 v4, v2, v3
	ds_load_b32 v0, v7 offset:9004
	v_mov_b32_e32 v5, v7
	s_wait_dscnt 0x0
	v_xor_b32_e32 v2, 0x80000000, v0
	v_mov_b32_e32 v0, 0
	v_mov_b32_e32 v1, 0
	ds_store_b32 v67, v8
	ds_store_b32 v7, v2 offset:9004
.LBB0_27:
	s_wait_alu 0xfffe
	s_or_b32 exec_lo, exec_lo, s1
	v_mov_b32_e32 v66, 0
	v_lshlrev_b64_e32 v[0:1], 3, v[0:1]
	s_add_nc_u64 s[2:3], s[4:5], 0x4600
	s_wait_dscnt 0x0
	s_delay_alu instid0(VALU_DEP_2) | instskip(SKIP_1) | instid1(VALU_DEP_2)
	v_lshlrev_b64_e32 v[2:3], 3, v[65:66]
	v_mov_b32_e32 v65, v66
	v_add_co_u32 v2, s1, s4, v2
	s_wait_alu 0xf1ff
	s_delay_alu instid0(VALU_DEP_3) | instskip(SKIP_2) | instid1(VALU_DEP_1)
	v_add_co_ci_u32_e64 v3, s1, s5, v3, s1
	global_load_b64 v[8:9], v[2:3], off offset:17920
	v_lshlrev_b64_e32 v[2:3], 3, v[64:65]
	v_add_co_u32 v2, s1, s4, v2
	s_wait_alu 0xf1ff
	s_delay_alu instid0(VALU_DEP_2)
	v_add_co_ci_u32_e64 v3, s1, s5, v3, s1
	global_load_b64 v[10:11], v[2:3], off offset:17920
	s_wait_alu 0xfffe
	v_add_co_u32 v2, s1, s2, v0
	s_wait_alu 0xf1ff
	v_add_co_ci_u32_e64 v3, s1, s3, v1, s1
	s_clause 0x3
	global_load_b64 v[12:13], v[2:3], off offset:2160
	global_load_b64 v[14:15], v[2:3], off offset:2880
	global_load_b64 v[16:17], v[2:3], off offset:3600
	global_load_b64 v[18:19], v[2:3], off offset:4320
	ds_store_b32 v67, v7 offset:4
	ds_store_b64 v6, v[4:5] offset:18000
	ds_load_b64 v[4:5], v57
	ds_load_b64 v[22:23], v6 offset:17280
	global_load_b64 v[20:21], v[2:3], off offset:5040
	s_wait_dscnt 0x0
	v_dual_sub_f32 v7, v4, v22 :: v_dual_add_f32 v24, v5, v23
	v_dual_sub_f32 v5, v5, v23 :: v_dual_add_f32 v22, v4, v22
	s_delay_alu instid0(VALU_DEP_2) | instskip(SKIP_1) | instid1(VALU_DEP_1)
	v_mul_f32_e32 v7, 0.5, v7
	s_wait_loadcnt 0x6
	v_dual_mul_f32 v23, 0.5, v24 :: v_dual_mul_f32 v24, v9, v7
	s_delay_alu instid0(VALU_DEP_1) | instskip(SKIP_2) | instid1(VALU_DEP_3)
	v_fma_f32 v4, 0.5, v22, v24
	v_mul_f32_e32 v5, 0.5, v5
	v_fma_f32 v22, v22, 0.5, -v24
	v_fmac_f32_e32 v4, v8, v23
	s_delay_alu instid0(VALU_DEP_3) | instskip(SKIP_1) | instid1(VALU_DEP_2)
	v_fma_f32 v25, v23, v9, v5
	v_fma_f32 v9, v23, v9, -v5
	v_fma_f32 v5, -v8, v7, v25
	s_delay_alu instid0(VALU_DEP_2)
	v_fma_f32 v9, -v8, v7, v9
	v_fma_f32 v8, -v8, v23, v22
	global_load_b64 v[22:23], v[2:3], off offset:5760
	ds_store_b64 v57, v[4:5]
	ds_store_b64 v6, v[8:9] offset:17280
	ds_load_b64 v[4:5], v56
	ds_load_b64 v[7:8], v6 offset:16560
	s_wait_dscnt 0x0
	v_dual_sub_f32 v9, v4, v7 :: v_dual_add_f32 v24, v5, v8
	s_delay_alu instid0(VALU_DEP_1) | instskip(NEXT) | instid1(VALU_DEP_2)
	v_dual_sub_f32 v5, v5, v8 :: v_dual_mul_f32 v8, 0.5, v9
	v_mul_f32_e32 v9, 0.5, v24
	v_add_f32_e32 v7, v4, v7
	s_wait_loadcnt 0x6
	s_delay_alu instid0(VALU_DEP_3) | instskip(NEXT) | instid1(VALU_DEP_1)
	v_dual_mul_f32 v5, 0.5, v5 :: v_dual_mul_f32 v24, v11, v8
	v_fma_f32 v25, v9, v11, v5
	v_fma_f32 v11, v9, v11, -v5
	s_delay_alu instid0(VALU_DEP_3) | instskip(NEXT) | instid1(VALU_DEP_3)
	v_fma_f32 v4, 0.5, v7, v24
	v_fma_f32 v5, -v10, v8, v25
	s_delay_alu instid0(VALU_DEP_3) | instskip(NEXT) | instid1(VALU_DEP_3)
	v_fma_f32 v8, -v10, v8, v11
	v_fmac_f32_e32 v4, v10, v9
	v_fma_f32 v7, v7, 0.5, -v24
	s_delay_alu instid0(VALU_DEP_1)
	v_fma_f32 v7, -v10, v9, v7
	ds_store_b64 v56, v[4:5]
	ds_store_b64 v6, v[7:8] offset:16560
	global_load_b64 v[4:5], v[2:3], off offset:6480
	ds_load_b64 v[7:8], v67 offset:2160
	ds_load_b64 v[9:10], v6 offset:15840
	s_wait_dscnt 0x0
	v_add_f32_e32 v24, v8, v10
	v_dual_sub_f32 v8, v8, v10 :: v_dual_sub_f32 v11, v7, v9
	s_delay_alu instid0(VALU_DEP_1) | instskip(NEXT) | instid1(VALU_DEP_2)
	v_mul_f32_e32 v8, 0.5, v8
	v_dual_mul_f32 v10, 0.5, v11 :: v_dual_mul_f32 v11, 0.5, v24
	s_wait_loadcnt 0x6
	s_delay_alu instid0(VALU_DEP_1) | instskip(NEXT) | instid1(VALU_DEP_2)
	v_dual_add_f32 v9, v7, v9 :: v_dual_mul_f32 v24, v13, v10
	v_fma_f32 v25, v11, v13, v8
	v_fma_f32 v13, v11, v13, -v8
	s_delay_alu instid0(VALU_DEP_3) | instskip(SKIP_1) | instid1(VALU_DEP_4)
	v_fma_f32 v7, 0.5, v9, v24
	v_fma_f32 v9, v9, 0.5, -v24
	v_fma_f32 v8, -v12, v10, v25
	s_delay_alu instid0(VALU_DEP_4) | instskip(NEXT) | instid1(VALU_DEP_4)
	v_fma_f32 v10, -v12, v10, v13
	v_fmac_f32_e32 v7, v12, v11
	s_delay_alu instid0(VALU_DEP_4)
	v_fma_f32 v9, -v12, v11, v9
	global_load_b64 v[11:12], v[2:3], off offset:7200
	ds_store_b64 v67, v[7:8] offset:2160
	ds_store_b64 v6, v[9:10] offset:15840
	ds_load_b64 v[7:8], v67 offset:2880
	ds_load_b64 v[9:10], v6 offset:15120
	s_wait_dscnt 0x0
	v_dual_sub_f32 v13, v7, v9 :: v_dual_add_f32 v24, v8, v10
	v_dual_sub_f32 v8, v8, v10 :: v_dual_add_f32 v9, v7, v9
	s_delay_alu instid0(VALU_DEP_2) | instskip(NEXT) | instid1(VALU_DEP_2)
	v_dual_mul_f32 v10, 0.5, v13 :: v_dual_mul_f32 v13, 0.5, v24
	v_mul_f32_e32 v8, 0.5, v8
	s_wait_loadcnt 0x6
	s_delay_alu instid0(VALU_DEP_2) | instskip(NEXT) | instid1(VALU_DEP_2)
	v_mul_f32_e32 v24, v15, v10
	v_fma_f32 v25, v13, v15, v8
	v_fma_f32 v15, v13, v15, -v8
	s_delay_alu instid0(VALU_DEP_3) | instskip(NEXT) | instid1(VALU_DEP_3)
	v_fma_f32 v7, 0.5, v9, v24
	v_fma_f32 v8, -v14, v10, v25
	s_delay_alu instid0(VALU_DEP_3) | instskip(NEXT) | instid1(VALU_DEP_3)
	v_fma_f32 v10, -v14, v10, v15
	v_fmac_f32_e32 v7, v14, v13
	v_fma_f32 v9, v9, 0.5, -v24
	s_delay_alu instid0(VALU_DEP_1)
	v_fma_f32 v9, -v14, v13, v9
	global_load_b64 v[13:14], v[2:3], off offset:7920
	ds_store_b64 v67, v[7:8] offset:2880
	ds_store_b64 v6, v[9:10] offset:15120
	ds_load_b64 v[7:8], v67 offset:3600
	ds_load_b64 v[9:10], v6 offset:14400
	s_wait_dscnt 0x0
	v_dual_sub_f32 v15, v7, v9 :: v_dual_add_f32 v24, v8, v10
	v_dual_sub_f32 v8, v8, v10 :: v_dual_add_f32 v9, v7, v9
	s_delay_alu instid0(VALU_DEP_2) | instskip(SKIP_1) | instid1(VALU_DEP_1)
	v_dual_mul_f32 v10, 0.5, v15 :: v_dual_mul_f32 v15, 0.5, v24
	s_wait_loadcnt 0x6
	v_mul_f32_e32 v24, v17, v10
	s_delay_alu instid0(VALU_DEP_1) | instskip(SKIP_2) | instid1(VALU_DEP_3)
	v_fma_f32 v7, 0.5, v9, v24
	v_mul_f32_e32 v8, 0.5, v8
	v_fma_f32 v9, v9, 0.5, -v24
	v_fmac_f32_e32 v7, v16, v15
	s_delay_alu instid0(VALU_DEP_3) | instskip(SKIP_1) | instid1(VALU_DEP_4)
	v_fma_f32 v25, v15, v17, v8
	v_fma_f32 v17, v15, v17, -v8
	v_fma_f32 v9, -v16, v15, v9
	s_delay_alu instid0(VALU_DEP_3) | instskip(NEXT) | instid1(VALU_DEP_3)
	v_fma_f32 v8, -v16, v10, v25
	v_fma_f32 v10, -v16, v10, v17
	ds_store_b64 v67, v[7:8] offset:3600
	ds_store_b64 v6, v[9:10] offset:14400
	ds_load_b64 v[7:8], v67 offset:4320
	ds_load_b64 v[9:10], v6 offset:13680
	s_wait_dscnt 0x0
	v_dual_sub_f32 v15, v7, v9 :: v_dual_add_f32 v16, v8, v10
	v_dual_add_f32 v9, v7, v9 :: v_dual_sub_f32 v8, v8, v10
	s_delay_alu instid0(VALU_DEP_2) | instskip(SKIP_1) | instid1(VALU_DEP_1)
	v_dual_mul_f32 v10, 0.5, v15 :: v_dual_mul_f32 v15, 0.5, v16
	s_wait_loadcnt 0x5
	v_mul_f32_e32 v16, v19, v10
	s_delay_alu instid0(VALU_DEP_1) | instskip(SKIP_2) | instid1(VALU_DEP_3)
	v_fma_f32 v7, 0.5, v9, v16
	v_mul_f32_e32 v8, 0.5, v8
	v_fma_f32 v9, v9, 0.5, -v16
	v_fmac_f32_e32 v7, v18, v15
	s_delay_alu instid0(VALU_DEP_3) | instskip(SKIP_1) | instid1(VALU_DEP_4)
	v_fma_f32 v17, v15, v19, v8
	v_fma_f32 v19, v15, v19, -v8
	v_fma_f32 v9, -v18, v15, v9
	s_delay_alu instid0(VALU_DEP_3) | instskip(NEXT) | instid1(VALU_DEP_3)
	v_fma_f32 v8, -v18, v10, v17
	v_fma_f32 v10, -v18, v10, v19
	ds_store_b64 v67, v[7:8] offset:4320
	ds_store_b64 v6, v[9:10] offset:13680
	ds_load_b64 v[7:8], v67 offset:5040
	ds_load_b64 v[9:10], v6 offset:12960
	s_wait_dscnt 0x0
	v_dual_sub_f32 v15, v7, v9 :: v_dual_add_f32 v16, v8, v10
	v_dual_add_f32 v9, v7, v9 :: v_dual_sub_f32 v8, v8, v10
	s_delay_alu instid0(VALU_DEP_2) | instskip(NEXT) | instid1(VALU_DEP_2)
	v_dual_mul_f32 v10, 0.5, v15 :: v_dual_mul_f32 v15, 0.5, v16
	v_mul_f32_e32 v8, 0.5, v8
	s_wait_loadcnt 0x4
	s_delay_alu instid0(VALU_DEP_2) | instskip(NEXT) | instid1(VALU_DEP_2)
	v_mul_f32_e32 v16, v21, v10
	v_fma_f32 v17, v15, v21, v8
	v_fma_f32 v18, v15, v21, -v8
	s_delay_alu instid0(VALU_DEP_3) | instskip(SKIP_1) | instid1(VALU_DEP_4)
	v_fma_f32 v7, 0.5, v9, v16
	v_fma_f32 v9, v9, 0.5, -v16
	v_fma_f32 v8, -v20, v10, v17
	s_delay_alu instid0(VALU_DEP_4) | instskip(NEXT) | instid1(VALU_DEP_4)
	v_fma_f32 v10, -v20, v10, v18
	v_fmac_f32_e32 v7, v20, v15
	s_delay_alu instid0(VALU_DEP_4)
	v_fma_f32 v9, -v20, v15, v9
	ds_store_b64 v67, v[7:8] offset:5040
	ds_store_b64 v6, v[9:10] offset:12960
	ds_load_b64 v[7:8], v67 offset:5760
	ds_load_b64 v[9:10], v6 offset:12240
	s_wait_dscnt 0x0
	v_dual_sub_f32 v15, v7, v9 :: v_dual_add_f32 v16, v8, v10
	v_dual_sub_f32 v8, v8, v10 :: v_dual_add_f32 v9, v7, v9
	s_delay_alu instid0(VALU_DEP_2) | instskip(NEXT) | instid1(VALU_DEP_2)
	v_dual_mul_f32 v10, 0.5, v15 :: v_dual_mul_f32 v15, 0.5, v16
	v_mul_f32_e32 v8, 0.5, v8
	s_wait_loadcnt 0x3
	s_delay_alu instid0(VALU_DEP_2) | instskip(NEXT) | instid1(VALU_DEP_2)
	v_mul_f32_e32 v16, v23, v10
	v_fma_f32 v17, v15, v23, v8
	v_fma_f32 v18, v15, v23, -v8
	s_delay_alu instid0(VALU_DEP_3) | instskip(SKIP_1) | instid1(VALU_DEP_4)
	v_fma_f32 v7, 0.5, v9, v16
	v_fma_f32 v9, v9, 0.5, -v16
	v_fma_f32 v8, -v22, v10, v17
	s_delay_alu instid0(VALU_DEP_4) | instskip(NEXT) | instid1(VALU_DEP_4)
	v_fma_f32 v10, -v22, v10, v18
	v_fmac_f32_e32 v7, v22, v15
	s_delay_alu instid0(VALU_DEP_4)
	v_fma_f32 v9, -v22, v15, v9
	ds_store_b64 v67, v[7:8] offset:5760
	ds_store_b64 v6, v[9:10] offset:12240
	ds_load_b64 v[7:8], v67 offset:6480
	ds_load_b64 v[9:10], v6 offset:11520
	s_wait_dscnt 0x0
	v_dual_sub_f32 v15, v7, v9 :: v_dual_add_f32 v16, v8, v10
	v_dual_sub_f32 v8, v8, v10 :: v_dual_add_f32 v9, v7, v9
	s_delay_alu instid0(VALU_DEP_2) | instskip(NEXT) | instid1(VALU_DEP_2)
	v_dual_mul_f32 v10, 0.5, v15 :: v_dual_mul_f32 v15, 0.5, v16
	v_mul_f32_e32 v8, 0.5, v8
	s_wait_loadcnt 0x2
	s_delay_alu instid0(VALU_DEP_2) | instskip(NEXT) | instid1(VALU_DEP_2)
	v_mul_f32_e32 v16, v5, v10
	v_fma_f32 v17, v15, v5, v8
	v_fma_f32 v5, v15, v5, -v8
	s_delay_alu instid0(VALU_DEP_3) | instskip(SKIP_1) | instid1(VALU_DEP_4)
	v_fma_f32 v7, 0.5, v9, v16
	v_fma_f32 v9, v9, 0.5, -v16
	v_fma_f32 v8, -v4, v10, v17
	s_delay_alu instid0(VALU_DEP_4) | instskip(NEXT) | instid1(VALU_DEP_4)
	v_fma_f32 v5, -v4, v10, v5
	v_fmac_f32_e32 v7, v4, v15
	s_delay_alu instid0(VALU_DEP_4)
	v_fma_f32 v4, -v4, v15, v9
	ds_store_b64 v67, v[7:8] offset:6480
	ds_store_b64 v6, v[4:5] offset:11520
	ds_load_b64 v[4:5], v67 offset:7200
	ds_load_b64 v[7:8], v6 offset:10800
	s_wait_dscnt 0x0
	v_sub_f32_e32 v9, v4, v7
	v_dual_add_f32 v7, v4, v7 :: v_dual_add_f32 v10, v5, v8
	s_delay_alu instid0(VALU_DEP_2) | instskip(NEXT) | instid1(VALU_DEP_2)
	v_dual_sub_f32 v5, v5, v8 :: v_dual_mul_f32 v8, 0.5, v9
	v_mul_f32_e32 v9, 0.5, v10
	s_wait_loadcnt 0x1
	s_delay_alu instid0(VALU_DEP_2) | instskip(NEXT) | instid1(VALU_DEP_1)
	v_dual_mul_f32 v5, 0.5, v5 :: v_dual_mul_f32 v10, v12, v8
	v_fma_f32 v15, v9, v12, v5
	v_fma_f32 v12, v9, v12, -v5
	s_delay_alu instid0(VALU_DEP_3) | instskip(SKIP_1) | instid1(VALU_DEP_4)
	v_fma_f32 v4, 0.5, v7, v10
	v_fma_f32 v7, v7, 0.5, -v10
	v_fma_f32 v5, -v11, v8, v15
	s_delay_alu instid0(VALU_DEP_4) | instskip(NEXT) | instid1(VALU_DEP_4)
	v_fma_f32 v8, -v11, v8, v12
	v_fmac_f32_e32 v4, v11, v9
	s_delay_alu instid0(VALU_DEP_4)
	v_fma_f32 v7, -v11, v9, v7
	ds_store_b64 v67, v[4:5] offset:7200
	ds_store_b64 v6, v[7:8] offset:10800
	ds_load_b64 v[4:5], v67 offset:7920
	ds_load_b64 v[7:8], v6 offset:10080
	s_wait_dscnt 0x0
	v_dual_sub_f32 v9, v4, v7 :: v_dual_add_f32 v10, v5, v8
	v_add_f32_e32 v7, v4, v7
	s_delay_alu instid0(VALU_DEP_2) | instskip(NEXT) | instid1(VALU_DEP_3)
	v_dual_sub_f32 v5, v5, v8 :: v_dual_mul_f32 v8, 0.5, v9
	v_mul_f32_e32 v9, 0.5, v10
	s_wait_loadcnt 0x0
	s_delay_alu instid0(VALU_DEP_2) | instskip(NEXT) | instid1(VALU_DEP_1)
	v_dual_mul_f32 v5, 0.5, v5 :: v_dual_mul_f32 v10, v14, v8
	v_fma_f32 v11, v9, v14, v5
	v_fma_f32 v12, v9, v14, -v5
	s_delay_alu instid0(VALU_DEP_3) | instskip(SKIP_1) | instid1(VALU_DEP_4)
	v_fma_f32 v4, 0.5, v7, v10
	v_fma_f32 v7, v7, 0.5, -v10
	v_fma_f32 v5, -v13, v8, v11
	s_delay_alu instid0(VALU_DEP_4) | instskip(NEXT) | instid1(VALU_DEP_4)
	v_fma_f32 v8, -v13, v8, v12
	v_fmac_f32_e32 v4, v13, v9
	s_delay_alu instid0(VALU_DEP_4)
	v_fma_f32 v7, -v13, v9, v7
	ds_store_b64 v67, v[4:5] offset:7920
	ds_store_b64 v6, v[7:8] offset:10080
	s_and_saveexec_b32 s1, s0
	s_cbranch_execz .LBB0_29
; %bb.28:
	global_load_b64 v[2:3], v[2:3], off offset:8640
	ds_load_b64 v[4:5], v67 offset:8640
	ds_load_b64 v[7:8], v6 offset:9360
	s_wait_dscnt 0x0
	v_dual_sub_f32 v9, v4, v7 :: v_dual_add_f32 v10, v5, v8
	v_dual_sub_f32 v5, v5, v8 :: v_dual_add_f32 v4, v4, v7
	s_delay_alu instid0(VALU_DEP_2) | instskip(NEXT) | instid1(VALU_DEP_2)
	v_dual_mul_f32 v8, 0.5, v9 :: v_dual_mul_f32 v9, 0.5, v10
	v_mul_f32_e32 v5, 0.5, v5
	s_wait_loadcnt 0x0
	s_delay_alu instid0(VALU_DEP_2) | instskip(NEXT) | instid1(VALU_DEP_2)
	v_mul_f32_e32 v7, v3, v8
	v_fma_f32 v10, v9, v3, v5
	v_fma_f32 v5, v9, v3, -v5
	s_delay_alu instid0(VALU_DEP_3) | instskip(SKIP_1) | instid1(VALU_DEP_4)
	v_fma_f32 v3, 0.5, v4, v7
	v_fma_f32 v7, v4, 0.5, -v7
	v_fma_f32 v4, -v2, v8, v10
	s_delay_alu instid0(VALU_DEP_4) | instskip(NEXT) | instid1(VALU_DEP_4)
	v_fma_f32 v8, -v2, v8, v5
	v_fmac_f32_e32 v3, v2, v9
	s_delay_alu instid0(VALU_DEP_4)
	v_fma_f32 v7, -v2, v9, v7
	ds_store_b64 v67, v[3:4] offset:8640
	ds_store_b64 v6, v[7:8] offset:9360
.LBB0_29:
	s_wait_alu 0xfffe
	s_or_b32 exec_lo, exec_lo, s1
	global_wb scope:SCOPE_SE
	s_wait_dscnt 0x0
	s_barrier_signal -1
	s_barrier_wait -1
	global_inv scope:SCOPE_SE
	s_and_saveexec_b32 s0, vcc_lo
	s_cbranch_execz .LBB0_32
; %bb.30:
	v_add_nc_u32_e32 v8, 0x400, v67
	ds_load_2addr_b64 v[4:7], v67 offset1:90
	v_add_co_u32 v2, vcc_lo, s8, v62
	s_wait_alu 0xfffd
	v_add_co_ci_u32_e32 v3, vcc_lo, s9, v63, vcc_lo
	ds_load_2addr_b64 v[8:11], v8 offset0:52 offset1:142
	v_add_co_u32 v0, vcc_lo, v2, v0
	v_add_nc_u32_e32 v12, 0x800, v67
	s_wait_alu 0xfffd
	v_add_co_ci_u32_e32 v1, vcc_lo, v3, v1, vcc_lo
	v_add_nc_u32_e32 v24, 0x1800, v67
	v_add_nc_u32_e32 v16, 0x1000, v67
	;; [unrolled: 1-line block ×9, first 2 shown]
	ds_load_2addr_b64 v[12:15], v12 offset0:104 offset1:194
	ds_load_2addr_b64 v[16:19], v16 offset0:28 offset1:118
	;; [unrolled: 1-line block ×8, first 2 shown]
	s_wait_dscnt 0x9
	s_clause 0x1
	global_store_b64 v[0:1], v[4:5], off
	global_store_b64 v[0:1], v[6:7], off offset:720
	s_wait_dscnt 0x8
	s_clause 0x1
	global_store_b64 v[0:1], v[8:9], off offset:1440
	global_store_b64 v[0:1], v[10:11], off offset:2160
	ds_load_2addr_b64 v[4:7], v44 offset0:8 offset1:98
	ds_load_2addr_b64 v[8:11], v45 offset0:60 offset1:150
	ds_load_b64 v[44:45], v67 offset:17280
	v_cmp_eq_u32_e32 vcc_lo, 0x59, v60
	s_wait_dscnt 0xa
	s_clause 0x1
	global_store_b64 v[0:1], v[12:13], off offset:2880
	global_store_b64 v[0:1], v[14:15], off offset:3600
	s_wait_dscnt 0x9
	s_clause 0x1
	global_store_b64 v[0:1], v[16:17], off offset:4320
	global_store_b64 v[0:1], v[18:19], off offset:5040
	;; [unrolled: 4-line block ×10, first 2 shown]
	s_wait_dscnt 0x0
	global_store_b64 v[0:1], v[44:45], off offset:17280
	s_and_b32 exec_lo, exec_lo, vcc_lo
	s_cbranch_execz .LBB0_32
; %bb.31:
	v_mov_b32_e32 v0, 0
	ds_load_b64 v[0:1], v0 offset:18000
	s_wait_dscnt 0x0
	global_store_b64 v[2:3], v[0:1], off offset:18000
.LBB0_32:
	s_nop 0
	s_sendmsg sendmsg(MSG_DEALLOC_VGPRS)
	s_endpgm
	.section	.rodata,"a",@progbits
	.p2align	6, 0x0
	.amdhsa_kernel fft_rtc_fwd_len2250_factors_10_3_5_3_5_wgs_90_tpt_90_halfLds_sp_ip_CI_unitstride_sbrr_R2C_dirReg
		.amdhsa_group_segment_fixed_size 0
		.amdhsa_private_segment_fixed_size 0
		.amdhsa_kernarg_size 88
		.amdhsa_user_sgpr_count 2
		.amdhsa_user_sgpr_dispatch_ptr 0
		.amdhsa_user_sgpr_queue_ptr 0
		.amdhsa_user_sgpr_kernarg_segment_ptr 1
		.amdhsa_user_sgpr_dispatch_id 0
		.amdhsa_user_sgpr_private_segment_size 0
		.amdhsa_wavefront_size32 1
		.amdhsa_uses_dynamic_stack 0
		.amdhsa_enable_private_segment 0
		.amdhsa_system_sgpr_workgroup_id_x 1
		.amdhsa_system_sgpr_workgroup_id_y 0
		.amdhsa_system_sgpr_workgroup_id_z 0
		.amdhsa_system_sgpr_workgroup_info 0
		.amdhsa_system_vgpr_workitem_id 0
		.amdhsa_next_free_vgpr 137
		.amdhsa_next_free_sgpr 32
		.amdhsa_reserve_vcc 1
		.amdhsa_float_round_mode_32 0
		.amdhsa_float_round_mode_16_64 0
		.amdhsa_float_denorm_mode_32 3
		.amdhsa_float_denorm_mode_16_64 3
		.amdhsa_fp16_overflow 0
		.amdhsa_workgroup_processor_mode 1
		.amdhsa_memory_ordered 1
		.amdhsa_forward_progress 0
		.amdhsa_round_robin_scheduling 0
		.amdhsa_exception_fp_ieee_invalid_op 0
		.amdhsa_exception_fp_denorm_src 0
		.amdhsa_exception_fp_ieee_div_zero 0
		.amdhsa_exception_fp_ieee_overflow 0
		.amdhsa_exception_fp_ieee_underflow 0
		.amdhsa_exception_fp_ieee_inexact 0
		.amdhsa_exception_int_div_zero 0
	.end_amdhsa_kernel
	.text
.Lfunc_end0:
	.size	fft_rtc_fwd_len2250_factors_10_3_5_3_5_wgs_90_tpt_90_halfLds_sp_ip_CI_unitstride_sbrr_R2C_dirReg, .Lfunc_end0-fft_rtc_fwd_len2250_factors_10_3_5_3_5_wgs_90_tpt_90_halfLds_sp_ip_CI_unitstride_sbrr_R2C_dirReg
                                        ; -- End function
	.section	.AMDGPU.csdata,"",@progbits
; Kernel info:
; codeLenInByte = 18984
; NumSgprs: 34
; NumVgprs: 137
; ScratchSize: 0
; MemoryBound: 0
; FloatMode: 240
; IeeeMode: 1
; LDSByteSize: 0 bytes/workgroup (compile time only)
; SGPRBlocks: 4
; VGPRBlocks: 17
; NumSGPRsForWavesPerEU: 34
; NumVGPRsForWavesPerEU: 137
; Occupancy: 10
; WaveLimiterHint : 1
; COMPUTE_PGM_RSRC2:SCRATCH_EN: 0
; COMPUTE_PGM_RSRC2:USER_SGPR: 2
; COMPUTE_PGM_RSRC2:TRAP_HANDLER: 0
; COMPUTE_PGM_RSRC2:TGID_X_EN: 1
; COMPUTE_PGM_RSRC2:TGID_Y_EN: 0
; COMPUTE_PGM_RSRC2:TGID_Z_EN: 0
; COMPUTE_PGM_RSRC2:TIDIG_COMP_CNT: 0
	.text
	.p2alignl 7, 3214868480
	.fill 96, 4, 3214868480
	.type	__hip_cuid_dfe276f9fe84eaea,@object ; @__hip_cuid_dfe276f9fe84eaea
	.section	.bss,"aw",@nobits
	.globl	__hip_cuid_dfe276f9fe84eaea
__hip_cuid_dfe276f9fe84eaea:
	.byte	0                               ; 0x0
	.size	__hip_cuid_dfe276f9fe84eaea, 1

	.ident	"AMD clang version 19.0.0git (https://github.com/RadeonOpenCompute/llvm-project roc-6.4.0 25133 c7fe45cf4b819c5991fe208aaa96edf142730f1d)"
	.section	".note.GNU-stack","",@progbits
	.addrsig
	.addrsig_sym __hip_cuid_dfe276f9fe84eaea
	.amdgpu_metadata
---
amdhsa.kernels:
  - .args:
      - .actual_access:  read_only
        .address_space:  global
        .offset:         0
        .size:           8
        .value_kind:     global_buffer
      - .offset:         8
        .size:           8
        .value_kind:     by_value
      - .actual_access:  read_only
        .address_space:  global
        .offset:         16
        .size:           8
        .value_kind:     global_buffer
      - .actual_access:  read_only
        .address_space:  global
        .offset:         24
        .size:           8
        .value_kind:     global_buffer
      - .offset:         32
        .size:           8
        .value_kind:     by_value
      - .actual_access:  read_only
        .address_space:  global
        .offset:         40
        .size:           8
        .value_kind:     global_buffer
      - .actual_access:  read_only
        .address_space:  global
        .offset:         48
        .size:           8
        .value_kind:     global_buffer
      - .offset:         56
        .size:           4
        .value_kind:     by_value
      - .actual_access:  read_only
        .address_space:  global
        .offset:         64
        .size:           8
        .value_kind:     global_buffer
      - .actual_access:  read_only
        .address_space:  global
        .offset:         72
        .size:           8
        .value_kind:     global_buffer
      - .address_space:  global
        .offset:         80
        .size:           8
        .value_kind:     global_buffer
    .group_segment_fixed_size: 0
    .kernarg_segment_align: 8
    .kernarg_segment_size: 88
    .language:       OpenCL C
    .language_version:
      - 2
      - 0
    .max_flat_workgroup_size: 90
    .name:           fft_rtc_fwd_len2250_factors_10_3_5_3_5_wgs_90_tpt_90_halfLds_sp_ip_CI_unitstride_sbrr_R2C_dirReg
    .private_segment_fixed_size: 0
    .sgpr_count:     34
    .sgpr_spill_count: 0
    .symbol:         fft_rtc_fwd_len2250_factors_10_3_5_3_5_wgs_90_tpt_90_halfLds_sp_ip_CI_unitstride_sbrr_R2C_dirReg.kd
    .uniform_work_group_size: 1
    .uses_dynamic_stack: false
    .vgpr_count:     137
    .vgpr_spill_count: 0
    .wavefront_size: 32
    .workgroup_processor_mode: 1
amdhsa.target:   amdgcn-amd-amdhsa--gfx1201
amdhsa.version:
  - 1
  - 2
...

	.end_amdgpu_metadata
